;; amdgpu-corpus repo=ROCm/rocFFT kind=compiled arch=gfx1030 opt=O3
	.text
	.amdgcn_target "amdgcn-amd-amdhsa--gfx1030"
	.amdhsa_code_object_version 6
	.protected	bluestein_single_back_len2880_dim1_dp_op_CI_CI ; -- Begin function bluestein_single_back_len2880_dim1_dp_op_CI_CI
	.globl	bluestein_single_back_len2880_dim1_dp_op_CI_CI
	.p2align	8
	.type	bluestein_single_back_len2880_dim1_dp_op_CI_CI,@function
bluestein_single_back_len2880_dim1_dp_op_CI_CI: ; @bluestein_single_back_len2880_dim1_dp_op_CI_CI
; %bb.0:
	s_load_dwordx4 s[16:19], s[4:5], 0x28
	v_mul_u32_u24_e32 v1, 0x2ab, v0
	s_mov_b64 s[38:39], s[2:3]
	s_mov_b64 s[36:37], s[0:1]
	v_mov_b32_e32 v3, 0
	s_add_u32 s36, s36, s7
	v_lshrrev_b32_e32 v1, 16, v1
	s_addc_u32 s37, s37, 0
	s_mov_b32 s0, exec_lo
	v_add_nc_u32_e32 v2, s6, v1
	s_waitcnt lgkmcnt(0)
	v_cmpx_gt_u64_e64 s[16:17], v[2:3]
	s_cbranch_execz .LBB0_2
; %bb.1:
	s_clause 0x1
	s_load_dwordx4 s[0:3], s[4:5], 0x18
	s_load_dwordx4 s[8:11], s[4:5], 0x0
	v_mov_b32_e32 v4, v2
	v_mul_lo_u16 v1, 0x60, v1
	s_mov_b32 s21, 0xbfee6f0e
	s_mov_b32 s17, 0xbfe2cf23
	;; [unrolled: 1-line block ×4, first 2 shown]
	v_sub_nc_u16 v101, v0, v1
	s_mov_b32 s25, 0xbfd3c6ef
	s_mov_b32 s27, 0xbfe9e377
	;; [unrolled: 1-line block ×3, first 2 shown]
	s_load_dwordx2 s[4:5], s[4:5], 0x38
	v_and_b32_e32 v7, 0xffff, v101
	v_or_b32_e32 v191, 0x480, v7
	v_mov_b32_e32 v192, v7
	s_waitcnt lgkmcnt(0)
	s_load_dwordx4 s[12:15], s[0:1], 0x0
	buffer_store_dword v4, off, s[36:39], 0 ; 4-byte Folded Spill
	buffer_store_dword v5, off, s[36:39], 0 offset:4 ; 4-byte Folded Spill
	s_add_u32 s28, s8, 0xb400
	v_lshlrev_b32_e32 v15, 4, v191
	v_lshlrev_b32_e32 v100, 4, v192
	v_or_b32_e32 v190, 0x180, v192
	v_or_b32_e32 v19, 0x600, v192
	;; [unrolled: 1-line block ×3, first 2 shown]
	s_addc_u32 s29, s9, 0
	v_add_co_u32 v56, s0, s8, v100
	v_lshlrev_b32_e32 v23, 4, v190
	v_lshlrev_b32_e32 v35, 4, v193
	v_add_co_ci_u32_e64 v57, null, s9, 0, s0
	s_waitcnt lgkmcnt(0)
	v_mad_u64_u32 v[0:1], null, s14, v2, 0
	v_mad_u64_u32 v[2:3], null, s12, v7, 0
	;; [unrolled: 1-line block ×5, first 2 shown]
	s_mul_i32 s0, s13, 0x1200
	s_mul_hi_u32 s6, s12, 0x1200
	s_mul_i32 s1, s12, 0x1200
	s_add_i32 s0, s6, s0
	s_mul_i32 s6, s13, 0x2400
	s_mul_hi_u32 s14, s12, 0x2400
	s_mul_i32 s7, s12, 0x2400
	s_add_i32 s6, s14, s6
	s_mul_i32 s14, s13, 0xffff6400
	s_sub_i32 s14, s14, s12
	v_mad_u64_u32 v[4:5], null, s15, v4, v[1:2]
	v_mad_u64_u32 v[5:6], null, s13, v7, v[3:4]
	v_mov_b32_e32 v1, v4
	v_or_b32_e32 v7, 0x900, v192
	v_lshlrev_b64 v[0:1], 4, v[0:1]
	v_mov_b32_e32 v3, v5
	v_mad_u64_u32 v[4:5], null, s12, v191, 0
	v_mad_u64_u32 v[12:13], null, s12, v7, 0
	v_lshlrev_b64 v[2:3], 4, v[2:3]
	v_add_co_u32 v10, vcc_lo, s18, v0
	v_add_co_ci_u32_e32 v11, vcc_lo, s19, v1, vcc_lo
	v_mov_b32_e32 v0, v5
	v_add_co_u32 v8, vcc_lo, v10, v2
	v_add_co_ci_u32_e32 v9, vcc_lo, v11, v3, vcc_lo
	v_mad_u64_u32 v[5:6], null, s13, v191, v[0:1]
	global_load_dwordx4 v[74:77], v100, s[8:9]
	global_load_dwordx4 v[0:3], v[8:9], off
	v_mov_b32_e32 v6, v13
	buffer_store_dword v15, off, s[36:39], 0 offset:596 ; 4-byte Folded Spill
	s_mov_b32 s18, 0x134454ff
	s_mov_b32 s19, 0x3fee6f0e
	;; [unrolled: 1-line block ×3, first 2 shown]
	v_lshlrev_b64 v[4:5], 4, v[4:5]
	v_mad_u64_u32 v[13:14], null, s13, v7, v[6:7]
	v_mov_b32_e32 v14, v7
	v_add_co_u32 v4, vcc_lo, v10, v4
	v_add_co_ci_u32_e32 v5, vcc_lo, v11, v5, vcc_lo
	buffer_store_dword v14, off, s[36:39], 0 offset:8 ; 4-byte Folded Spill
	global_load_dwordx4 v[78:81], v15, s[8:9]
	global_load_dwordx4 v[4:7], v[4:5], off
	v_lshlrev_b64 v[12:13], 4, v[12:13]
	v_lshlrev_b32_e32 v15, 4, v14
	v_mov_b32_e32 v14, v17
	v_add_co_u32 v12, vcc_lo, v10, v12
	v_add_co_ci_u32_e32 v13, vcc_lo, v11, v13, vcc_lo
	buffer_store_dword v15, off, s[36:39], 0 offset:604 ; 4-byte Folded Spill
	v_mad_u64_u32 v[17:18], null, s13, v190, v[14:15]
	global_load_dwordx4 v[82:85], v15, s[8:9]
	global_load_dwordx4 v[12:15], v[12:13], off
	v_mov_b32_e32 v18, v21
	buffer_store_dword v23, off, s[36:39], 0 offset:516 ; 4-byte Folded Spill
	v_lshlrev_b64 v[16:17], 4, v[16:17]
	v_mad_u64_u32 v[21:22], null, s13, v19, v[18:19]
	v_mov_b32_e32 v22, v19
	v_add_co_u32 v16, vcc_lo, v10, v16
	v_add_co_ci_u32_e32 v17, vcc_lo, v11, v17, vcc_lo
	buffer_store_dword v22, off, s[36:39], 0 offset:52 ; 4-byte Folded Spill
	global_load_dwordx4 v[66:69], v23, s[8:9]
	global_load_dwordx4 v[16:19], v[16:17], off
	v_or_b32_e32 v23, 0xa80, v192
	v_lshlrev_b64 v[20:21], 4, v[20:21]
	v_lshlrev_b32_e32 v27, 4, v22
	v_mad_u64_u32 v[24:25], null, s12, v23, 0
	v_add_co_u32 v20, vcc_lo, v10, v20
	v_add_co_ci_u32_e32 v21, vcc_lo, v11, v21, vcc_lo
	buffer_store_dword v27, off, s[36:39], 0 offset:524 ; 4-byte Folded Spill
	v_mov_b32_e32 v22, v25
	v_mad_u64_u32 v[25:26], null, s13, v23, v[22:23]
	v_mov_b32_e32 v26, v23
	buffer_store_dword v26, off, s[36:39], 0 offset:32 ; 4-byte Folded Spill
	global_load_dwordx4 v[70:73], v27, s[8:9]
	global_load_dwordx4 v[20:23], v[20:21], off
	v_lshlrev_b64 v[24:25], 4, v[24:25]
	v_lshlrev_b32_e32 v27, 4, v26
	v_mov_b32_e32 v26, v29
	v_add_co_u32 v24, vcc_lo, v10, v24
	v_add_co_ci_u32_e32 v25, vcc_lo, v11, v25, vcc_lo
	v_mad_u64_u32 v[29:30], null, s13, v193, v[26:27]
	v_or_b32_e32 v30, 0x780, v192
	buffer_store_dword v27, off, s[36:39], 0 offset:528 ; 4-byte Folded Spill
	global_load_dwordx4 v[58:61], v27, s[8:9]
	global_load_dwordx4 v[24:27], v[24:25], off
	buffer_store_dword v35, off, s[36:39], 0 offset:532 ; 4-byte Folded Spill
	v_mad_u64_u32 v[32:33], null, s12, v30, 0
	v_mov_b32_e32 v31, v30
	v_lshlrev_b64 v[28:29], 4, v[28:29]
	v_mov_b32_e32 v30, v33
	v_add_co_u32 v28, vcc_lo, v10, v28
	v_add_co_ci_u32_e32 v29, vcc_lo, v11, v29, vcc_lo
	v_mad_u64_u32 v[33:34], null, s13, v31, v[30:31]
	v_mov_b32_e32 v34, v31
	buffer_store_dword v34, off, s[36:39], 0 offset:12 ; 4-byte Folded Spill
	global_load_dwordx4 v[62:65], v35, s[8:9]
	global_load_dwordx4 v[28:31], v[28:29], off
	v_lshlrev_b64 v[32:33], 4, v[32:33]
	v_lshlrev_b32_e32 v34, 4, v34
	v_add_co_u32 v10, vcc_lo, v10, v32
	v_add_co_ci_u32_e32 v11, vcc_lo, v11, v33, vcc_lo
	buffer_store_dword v34, off, s[36:39], 0 offset:520 ; 4-byte Folded Spill
	global_load_dwordx4 v[50:53], v34, s[8:9]
	global_load_dwordx4 v[32:35], v[10:11], off
	v_add_co_u32 v10, vcc_lo, 0x1000, v56
	v_add_co_ci_u32_e32 v11, vcc_lo, 0, v57, vcc_lo
	v_add_co_u32 v8, vcc_lo, v8, s1
	v_add_co_ci_u32_e32 v9, vcc_lo, s0, v9, vcc_lo
	global_load_dwordx4 v[86:89], v[10:11], off offset:512
	global_load_dwordx4 v[36:39], v[8:9], off
	v_add_co_u32 v10, vcc_lo, 0x2000, v56
	v_add_co_ci_u32_e32 v11, vcc_lo, 0, v57, vcc_lo
	v_add_co_u32 v8, vcc_lo, v8, s1
	v_add_co_ci_u32_e32 v9, vcc_lo, s0, v9, vcc_lo
	global_load_dwordx4 v[90:93], v[10:11], off offset:1024
	;; [unrolled: 6-line block ×3, first 2 shown]
	global_load_dwordx4 v[44:47], v[48:49], off
	s_waitcnt vmcnt(21)
	buffer_store_dword v74, off, s[36:39], 0 offset:376 ; 4-byte Folded Spill
	buffer_store_dword v75, off, s[36:39], 0 offset:380 ; 4-byte Folded Spill
	buffer_store_dword v76, off, s[36:39], 0 offset:384 ; 4-byte Folded Spill
	buffer_store_dword v77, off, s[36:39], 0 offset:388 ; 4-byte Folded Spill
	s_waitcnt vmcnt(19)
	buffer_store_dword v78, off, s[36:39], 0 offset:360 ; 4-byte Folded Spill
	buffer_store_dword v79, off, s[36:39], 0 offset:364 ; 4-byte Folded Spill
	buffer_store_dword v80, off, s[36:39], 0 offset:368 ; 4-byte Folded Spill
	buffer_store_dword v81, off, s[36:39], 0 offset:372 ; 4-byte Folded Spill
	;; [unrolled: 5-line block ×11, first 2 shown]
	v_mul_f64 v[8:9], v[2:3], v[76:77]
	v_mul_f64 v[10:11], v[0:1], v[76:77]
	v_fma_f64 v[8:9], v[0:1], v[74:75], v[8:9]
	v_mul_f64 v[0:1], v[6:7], v[80:81]
	v_fma_f64 v[10:11], v[2:3], v[74:75], -v[10:11]
	v_mul_f64 v[2:3], v[4:5], v[80:81]
	v_fma_f64 v[0:1], v[4:5], v[78:79], v[0:1]
	v_mul_f64 v[4:5], v[14:15], v[84:85]
	v_fma_f64 v[2:3], v[6:7], v[78:79], -v[2:3]
	;; [unrolled: 4-line block ×9, first 2 shown]
	v_mul_f64 v[38:39], v[40:41], v[92:93]
	v_fma_f64 v[36:37], v[40:41], v[90:91], v[36:37]
	s_waitcnt vmcnt(0)
	v_mul_f64 v[40:41], v[46:47], v[96:97]
	v_fma_f64 v[38:39], v[42:43], v[90:91], -v[38:39]
	v_mul_f64 v[42:43], v[44:45], v[96:97]
	v_fma_f64 v[40:41], v[44:45], v[94:95], v[40:41]
	v_add_co_u32 v44, vcc_lo, 0x5800, v56
	v_add_co_ci_u32_e32 v45, vcc_lo, 0, v57, vcc_lo
	v_add_co_u32 v48, vcc_lo, v48, s7
	v_add_co_ci_u32_e32 v49, vcc_lo, s6, v49, vcc_lo
	global_load_dwordx4 v[58:61], v[44:45], off offset:512
	v_fma_f64 v[42:43], v[46:47], v[94:95], -v[42:43]
	s_waitcnt vmcnt(0)
	buffer_store_dword v58, off, s[36:39], 0 offset:440 ; 4-byte Folded Spill
	buffer_store_dword v59, off, s[36:39], 0 offset:444 ; 4-byte Folded Spill
	buffer_store_dword v60, off, s[36:39], 0 offset:448 ; 4-byte Folded Spill
	buffer_store_dword v61, off, s[36:39], 0 offset:452 ; 4-byte Folded Spill
	global_load_dwordx4 v[44:47], v[48:49], off
	s_waitcnt vmcnt(0)
	v_mul_f64 v[52:53], v[44:45], v[60:61]
	v_mul_f64 v[50:51], v[46:47], v[60:61]
	v_fma_f64 v[46:47], v[46:47], v[58:59], -v[52:53]
	v_add_co_u32 v52, vcc_lo, v48, s1
	v_add_co_ci_u32_e32 v53, vcc_lo, s0, v49, vcc_lo
	v_add_co_u32 v48, vcc_lo, 0x6800, v56
	v_add_co_ci_u32_e32 v49, vcc_lo, 0, v57, vcc_lo
	v_fma_f64 v[44:45], v[44:45], v[58:59], v[50:51]
	global_load_dwordx4 v[60:63], v[48:49], off offset:1024
	s_waitcnt vmcnt(0)
	buffer_store_dword v60, off, s[36:39], 0 offset:456 ; 4-byte Folded Spill
	buffer_store_dword v61, off, s[36:39], 0 offset:460 ; 4-byte Folded Spill
	;; [unrolled: 1-line block ×4, first 2 shown]
	global_load_dwordx4 v[48:51], v[52:53], off
	s_waitcnt vmcnt(0)
	v_mul_f64 v[58:59], v[48:49], v[62:63]
	v_mul_f64 v[54:55], v[50:51], v[62:63]
	v_fma_f64 v[50:51], v[50:51], v[60:61], -v[58:59]
	v_add_co_u32 v58, vcc_lo, v52, s1
	v_add_co_ci_u32_e32 v59, vcc_lo, s0, v53, vcc_lo
	v_add_co_u32 v52, vcc_lo, 0x7800, v56
	v_add_co_ci_u32_e32 v53, vcc_lo, 0, v57, vcc_lo
	global_load_dwordx4 v[64:67], v[52:53], off offset:1536
	v_fma_f64 v[48:49], v[48:49], v[60:61], v[54:55]
	s_waitcnt vmcnt(0)
	buffer_store_dword v64, off, s[36:39], 0 offset:472 ; 4-byte Folded Spill
	buffer_store_dword v65, off, s[36:39], 0 offset:476 ; 4-byte Folded Spill
	;; [unrolled: 1-line block ×4, first 2 shown]
	global_load_dwordx4 v[52:55], v[58:59], off
	s_waitcnt vmcnt(0)
	v_mul_f64 v[62:63], v[52:53], v[66:67]
	v_mul_f64 v[60:61], v[54:55], v[66:67]
	v_fma_f64 v[54:55], v[54:55], v[64:65], -v[62:63]
	v_add_co_u32 v62, vcc_lo, v58, s7
	v_add_co_ci_u32_e32 v63, vcc_lo, s6, v59, vcc_lo
	v_add_co_u32 v58, vcc_lo, 0xa000, v56
	v_add_co_ci_u32_e32 v59, vcc_lo, 0, v57, vcc_lo
	global_load_dwordx4 v[68:71], v[58:59], off offset:512
	v_fma_f64 v[52:53], v[52:53], v[64:65], v[60:61]
	s_waitcnt vmcnt(0)
	buffer_store_dword v68, off, s[36:39], 0 offset:488 ; 4-byte Folded Spill
	buffer_store_dword v69, off, s[36:39], 0 offset:492 ; 4-byte Folded Spill
	;; [unrolled: 1-line block ×4, first 2 shown]
	global_load_dwordx4 v[58:61], v[62:63], off
	global_load_dwordx4 v[72:75], v100, s[8:9] offset:1536
	s_mul_i32 s8, s13, 0xffff7600
	s_mov_b32 s9, 0xbfebb67a
	s_sub_i32 s8, s8, s12
	s_waitcnt vmcnt(0)
	buffer_store_dword v72, off, s[36:39], 0 offset:280 ; 4-byte Folded Spill
	buffer_store_dword v73, off, s[36:39], 0 offset:284 ; 4-byte Folded Spill
	;; [unrolled: 1-line block ×4, first 2 shown]
	v_mul_f64 v[66:67], v[58:59], v[70:71]
	v_mul_f64 v[64:65], v[60:61], v[70:71]
	v_fma_f64 v[60:61], v[60:61], v[68:69], -v[66:67]
	v_mad_u64_u32 v[66:67], null, 0xffff6400, s12, v[62:63]
	v_fma_f64 v[58:59], v[58:59], v[68:69], v[64:65]
	v_add_nc_u32_e32 v67, s14, v67
	s_mov_b32 s14, 0x372fe950
	s_mov_b32 s15, 0x3fd3c6ef
	;; [unrolled: 1-line block ×3, first 2 shown]
	global_load_dwordx4 v[62:65], v[66:67], off
	s_waitcnt vmcnt(0)
	v_mul_f64 v[70:71], v[62:63], v[74:75]
	v_mul_f64 v[68:69], v[64:65], v[74:75]
	v_fma_f64 v[64:65], v[64:65], v[72:73], -v[70:71]
	v_add_co_u32 v70, vcc_lo, v66, s7
	v_add_co_ci_u32_e32 v71, vcc_lo, s6, v67, vcc_lo
	v_add_co_u32 v66, vcc_lo, 0x2800, v56
	v_add_co_ci_u32_e32 v67, vcc_lo, 0, v57, vcc_lo
	global_load_dwordx4 v[76:79], v[66:67], off offset:512
	v_fma_f64 v[62:63], v[62:63], v[72:73], v[68:69]
	s_waitcnt vmcnt(0)
	buffer_store_dword v76, off, s[36:39], 0 offset:296 ; 4-byte Folded Spill
	buffer_store_dword v77, off, s[36:39], 0 offset:300 ; 4-byte Folded Spill
	buffer_store_dword v78, off, s[36:39], 0 offset:304 ; 4-byte Folded Spill
	buffer_store_dword v79, off, s[36:39], 0 offset:308 ; 4-byte Folded Spill
	global_load_dwordx4 v[66:69], v[70:71], off
	s_waitcnt vmcnt(0)
	v_mul_f64 v[74:75], v[66:67], v[78:79]
	v_mul_f64 v[72:73], v[68:69], v[78:79]
	v_fma_f64 v[68:69], v[68:69], v[76:77], -v[74:75]
	v_add_co_u32 v74, vcc_lo, v70, s1
	v_add_co_ci_u32_e32 v75, vcc_lo, s0, v71, vcc_lo
	v_add_co_u32 v70, vcc_lo, 0x3800, v56
	v_add_co_ci_u32_e32 v71, vcc_lo, 0, v57, vcc_lo
	global_load_dwordx4 v[80:83], v[70:71], off offset:1024
	v_fma_f64 v[66:67], v[66:67], v[76:77], v[72:73]
	s_waitcnt vmcnt(0)
	buffer_store_dword v80, off, s[36:39], 0 offset:312 ; 4-byte Folded Spill
	buffer_store_dword v81, off, s[36:39], 0 offset:316 ; 4-byte Folded Spill
	buffer_store_dword v82, off, s[36:39], 0 offset:320 ; 4-byte Folded Spill
	buffer_store_dword v83, off, s[36:39], 0 offset:324 ; 4-byte Folded Spill
	;; [unrolled: 16-line block ×6, first 2 shown]
	global_load_dwordx4 v[86:89], v[90:91], off
	s_waitcnt vmcnt(0)
	v_mul_f64 v[94:95], v[86:87], v[98:99]
	v_mul_f64 v[92:93], v[88:89], v[98:99]
	v_fma_f64 v[88:89], v[88:89], v[96:97], -v[94:95]
	v_mad_u64_u32 v[94:95], null, 0xffff7600, s12, v[90:91]
	v_add_co_u32 v90, vcc_lo, 0x800, v56
	v_add_co_ci_u32_e32 v91, vcc_lo, 0, v57, vcc_lo
	s_mov_b32 s12, 0x4755a5e
	s_mov_b32 s13, 0x3fe2cf23
	v_add_nc_u32_e32 v95, s8, v95
	global_load_dwordx4 v[102:105], v[90:91], off offset:1024
	v_fma_f64 v[86:87], v[86:87], v[96:97], v[92:93]
	s_mov_b32 s16, s12
	s_waitcnt vmcnt(0)
	buffer_store_dword v102, off, s[36:39], 0 offset:216 ; 4-byte Folded Spill
	buffer_store_dword v103, off, s[36:39], 0 offset:220 ; 4-byte Folded Spill
	buffer_store_dword v104, off, s[36:39], 0 offset:224 ; 4-byte Folded Spill
	buffer_store_dword v105, off, s[36:39], 0 offset:228 ; 4-byte Folded Spill
	global_load_dwordx4 v[90:93], v[94:95], off
	s_waitcnt vmcnt(0)
	v_mul_f64 v[98:99], v[90:91], v[104:105]
	v_mul_f64 v[96:97], v[92:93], v[104:105]
	v_fma_f64 v[92:93], v[92:93], v[102:103], -v[98:99]
	v_add_co_u32 v98, vcc_lo, v94, s1
	v_add_co_ci_u32_e32 v99, vcc_lo, s0, v95, vcc_lo
	v_add_co_u32 v94, vcc_lo, 0x1800, v56
	v_add_co_ci_u32_e32 v95, vcc_lo, 0, v57, vcc_lo
	global_load_dwordx4 v[106:109], v[94:95], off offset:1536
	v_fma_f64 v[90:91], v[90:91], v[102:103], v[96:97]
	s_waitcnt vmcnt(0)
	buffer_store_dword v106, off, s[36:39], 0 offset:88 ; 4-byte Folded Spill
	buffer_store_dword v107, off, s[36:39], 0 offset:92 ; 4-byte Folded Spill
	buffer_store_dword v108, off, s[36:39], 0 offset:96 ; 4-byte Folded Spill
	buffer_store_dword v109, off, s[36:39], 0 offset:100 ; 4-byte Folded Spill
	global_load_dwordx4 v[94:97], v[98:99], off
	v_add_co_u32 v98, vcc_lo, v98, s7
	v_add_co_ci_u32_e32 v99, vcc_lo, s6, v99, vcc_lo
	s_waitcnt vmcnt(0)
	v_mul_f64 v[102:103], v[96:97], v[108:109]
	v_mul_f64 v[104:105], v[94:95], v[108:109]
	v_fma_f64 v[94:95], v[94:95], v[106:107], v[102:103]
	v_add_co_u32 v102, vcc_lo, 0x4000, v56
	v_add_co_ci_u32_e32 v103, vcc_lo, 0, v57, vcc_lo
	v_fma_f64 v[96:97], v[96:97], v[106:107], -v[104:105]
	global_load_dwordx4 v[110:113], v[102:103], off offset:512
	s_waitcnt vmcnt(0)
	buffer_store_dword v110, off, s[36:39], 0 offset:72 ; 4-byte Folded Spill
	buffer_store_dword v111, off, s[36:39], 0 offset:76 ; 4-byte Folded Spill
	buffer_store_dword v112, off, s[36:39], 0 offset:80 ; 4-byte Folded Spill
	buffer_store_dword v113, off, s[36:39], 0 offset:84 ; 4-byte Folded Spill
	global_load_dwordx4 v[102:105], v[98:99], off
	v_add_co_u32 v98, vcc_lo, v98, s1
	v_add_co_ci_u32_e32 v99, vcc_lo, s0, v99, vcc_lo
	s_waitcnt vmcnt(0)
	v_mul_f64 v[106:107], v[104:105], v[112:113]
	v_mul_f64 v[108:109], v[102:103], v[112:113]
	v_fma_f64 v[102:103], v[102:103], v[110:111], v[106:107]
	v_add_co_u32 v106, vcc_lo, 0x5000, v56
	v_add_co_ci_u32_e32 v107, vcc_lo, 0, v57, vcc_lo
	v_fma_f64 v[104:105], v[104:105], v[110:111], -v[108:109]
	global_load_dwordx4 v[114:117], v[106:107], off offset:1024
	;; [unrolled: 16-line block ×5, first 2 shown]
	s_waitcnt vmcnt(0)
	buffer_store_dword v126, off, s[36:39], 0 offset:152 ; 4-byte Folded Spill
	buffer_store_dword v127, off, s[36:39], 0 offset:156 ; 4-byte Folded Spill
	buffer_store_dword v128, off, s[36:39], 0 offset:160 ; 4-byte Folded Spill
	buffer_store_dword v129, off, s[36:39], 0 offset:164 ; 4-byte Folded Spill
	global_load_dwordx4 v[118:121], v[98:99], off
	v_add_co_u32 v98, vcc_lo, v98, s1
	v_add_co_ci_u32_e32 v99, vcc_lo, s0, v99, vcc_lo
	v_add_co_u32 v56, vcc_lo, 0xa800, v56
	v_add_co_ci_u32_e32 v57, vcc_lo, 0, v57, vcc_lo
	v_cmp_gt_u16_e32 vcc_lo, 60, v101
	s_waitcnt vmcnt(0)
	v_mul_f64 v[122:123], v[120:121], v[128:129]
	v_mul_f64 v[124:125], v[118:119], v[128:129]
	v_fma_f64 v[118:119], v[118:119], v[126:127], v[122:123]
	v_fma_f64 v[120:121], v[120:121], v[126:127], -v[124:125]
	global_load_dwordx4 v[126:129], v[56:57], off offset:1536
	s_waitcnt vmcnt(0)
	buffer_store_dword v126, off, s[36:39], 0 offset:168 ; 4-byte Folded Spill
	buffer_store_dword v127, off, s[36:39], 0 offset:172 ; 4-byte Folded Spill
	;; [unrolled: 1-line block ×4, first 2 shown]
	global_load_dwordx4 v[122:125], v[98:99], off
	s_waitcnt vmcnt(0)
	v_mul_f64 v[56:57], v[124:125], v[128:129]
	v_mul_f64 v[98:99], v[122:123], v[128:129]
	v_fma_f64 v[122:123], v[122:123], v[126:127], v[56:57]
	v_fma_f64 v[124:125], v[124:125], v[126:127], -v[98:99]
	ds_write_b128 v100, v[8:11]
	ds_write_b128 v100, v[0:3] offset:18432
	ds_write_b128 v100, v[4:7] offset:36864
	;; [unrolled: 1-line block ×29, first 2 shown]
	s_load_dwordx4 s[0:3], s[2:3], 0x0
	s_waitcnt lgkmcnt(0)
	s_waitcnt_vscnt null, 0x0
	s_barrier
	buffer_gl0_inv
	ds_read_b128 v[2:5], v100 offset:27648
	ds_read_b128 v[6:9], v100 offset:18432
	ds_read_b128 v[10:13], v100
	ds_read_b128 v[14:17], v100 offset:9216
	ds_read_b128 v[18:21], v100 offset:36864
	s_waitcnt lgkmcnt(3)
	v_add_f64 v[0:1], v[6:7], v[2:3]
	v_add_f64 v[24:25], v[8:9], v[4:5]
	s_waitcnt lgkmcnt(0)
	v_add_f64 v[22:23], v[14:15], v[18:19]
	v_add_f64 v[26:27], v[16:17], v[20:21]
	v_add_f64 v[30:31], v[14:15], -v[6:7]
	v_add_f64 v[48:49], v[6:7], -v[14:15]
	;; [unrolled: 1-line block ×12, first 2 shown]
	v_fma_f64 v[0:1], v[0:1], -0.5, v[10:11]
	v_fma_f64 v[24:25], v[24:25], -0.5, v[12:13]
	;; [unrolled: 1-line block ×4, first 2 shown]
	v_add_f64 v[10:11], v[10:11], v[14:15]
	v_add_f64 v[12:13], v[12:13], v[16:17]
	v_add_f64 v[10:11], v[10:11], v[6:7]
	v_add_f64 v[12:13], v[12:13], v[8:9]
	v_add_f64 v[6:7], v[10:11], v[2:3]
	v_add_f64 v[8:9], v[12:13], v[4:5]
	v_add_f64 v[32:33], v[6:7], v[18:19]
	v_add_f64 v[34:35], v[8:9], v[20:21]
	ds_read_b128 v[2:5], v100 offset:23040
	ds_read_b128 v[6:9], v100 offset:32256
	;; [unrolled: 1-line block ×3, first 2 shown]
	s_waitcnt lgkmcnt(1)
	v_add_f64 v[14:15], v[2:3], v[6:7]
	v_add_f64 v[96:97], v[4:5], -v[8:9]
	v_add_f64 v[98:99], v[2:3], -v[6:7]
	s_waitcnt lgkmcnt(0)
	v_fma_f64 v[70:71], v[14:15], -0.5, v[10:11]
	ds_read_b128 v[14:17], v100 offset:13824
	ds_read_b128 v[18:21], v100 offset:41472
	s_waitcnt lgkmcnt(1)
	v_add_f64 v[46:47], v[14:15], -v[2:3]
	s_waitcnt lgkmcnt(0)
	v_add_f64 v[36:37], v[14:15], v[18:19]
	v_add_f64 v[60:61], v[2:3], -v[14:15]
	v_add_f64 v[62:63], v[16:17], -v[4:5]
	;; [unrolled: 1-line block ×9, first 2 shown]
	v_fma_f64 v[56:57], v[36:37], -0.5, v[10:11]
	v_add_f64 v[36:37], v[4:5], v[8:9]
	v_add_f64 v[10:11], v[10:11], v[14:15]
	;; [unrolled: 1-line block ×6, first 2 shown]
	v_fma_f64 v[80:81], v[36:37], -0.5, v[12:13]
	v_add_f64 v[36:37], v[16:17], v[20:21]
	v_add_f64 v[10:11], v[10:11], v[2:3]
	v_fma_f64 v[58:59], v[36:37], -0.5, v[12:13]
	v_add_f64 v[12:13], v[12:13], v[16:17]
	v_add_f64 v[2:3], v[10:11], v[6:7]
	;; [unrolled: 1-line block ×6, first 2 shown]
	ds_read_b128 v[2:5], v100 offset:1536
	ds_read_b128 v[6:9], v100 offset:10752
	;; [unrolled: 1-line block ×3, first 2 shown]
	s_waitcnt lgkmcnt(1)
	v_add_f64 v[14:15], v[2:3], v[6:7]
	s_waitcnt lgkmcnt(0)
	v_add_f64 v[116:117], v[6:7], -v[10:11]
	v_add_f64 v[118:119], v[10:11], -v[6:7]
	;; [unrolled: 1-line block ×4, first 2 shown]
	v_add_f64 v[18:19], v[14:15], v[10:11]
	v_add_f64 v[14:15], v[4:5], v[8:9]
	;; [unrolled: 1-line block ×3, first 2 shown]
	ds_read_b128 v[14:17], v100 offset:29184
	s_waitcnt lgkmcnt(0)
	v_add_f64 v[114:115], v[10:11], v[14:15]
	v_add_f64 v[72:73], v[12:13], -v[16:17]
	v_add_f64 v[120:121], v[12:13], v[16:17]
	v_add_f64 v[74:75], v[10:11], -v[14:15]
	ds_read_b128 v[10:13], v100 offset:38400
	s_waitcnt lgkmcnt(0)
	v_add_f64 v[76:77], v[8:9], -v[12:13]
	v_add_f64 v[126:127], v[6:7], v[10:11]
	v_add_f64 v[78:79], v[6:7], -v[10:11]
	v_add_f64 v[128:129], v[8:9], v[12:13]
	v_add_f64 v[6:7], v[18:19], v[14:15]
	;; [unrolled: 1-line block ×3, first 2 shown]
	v_add_f64 v[130:131], v[10:11], -v[14:15]
	v_add_f64 v[132:133], v[14:15], -v[10:11]
	;; [unrolled: 1-line block ×4, first 2 shown]
	v_add_f64 v[140:141], v[6:7], v[10:11]
	v_add_f64 v[142:143], v[8:9], v[12:13]
	ds_read_b128 v[6:9], v100 offset:15360
	ds_read_b128 v[10:13], v100 offset:6144
	;; [unrolled: 1-line block ×3, first 2 shown]
	s_waitcnt lgkmcnt(1)
	v_add_f64 v[18:19], v[10:11], v[6:7]
	s_waitcnt lgkmcnt(0)
	v_add_f64 v[144:145], v[6:7], -v[14:15]
	v_add_f64 v[146:147], v[14:15], -v[6:7]
	;; [unrolled: 1-line block ×4, first 2 shown]
	v_add_f64 v[36:37], v[18:19], v[14:15]
	v_add_f64 v[18:19], v[12:13], v[8:9]
	;; [unrolled: 1-line block ×3, first 2 shown]
	ds_read_b128 v[18:21], v100 offset:33792
	s_waitcnt lgkmcnt(0)
	v_add_f64 v[134:135], v[14:15], v[18:19]
	v_add_f64 v[84:85], v[16:17], -v[20:21]
	v_add_f64 v[148:149], v[16:17], v[20:21]
	v_add_f64 v[86:87], v[14:15], -v[18:19]
	ds_read_b128 v[14:17], v100 offset:43008
	s_waitcnt lgkmcnt(0)
	v_add_f64 v[90:91], v[8:9], -v[16:17]
	v_add_f64 v[154:155], v[6:7], v[14:15]
	v_add_f64 v[88:89], v[6:7], -v[14:15]
	v_add_f64 v[6:7], v[8:9], v[16:17]
	v_add_f64 v[8:9], v[36:37], v[18:19]
	v_add_f64 v[36:37], v[38:39], v[20:21]
	v_add_f64 v[156:157], v[14:15], -v[18:19]
	v_add_f64 v[18:19], v[18:19], -v[14:15]
	;; [unrolled: 1-line block ×4, first 2 shown]
	v_add_f64 v[38:39], v[34:35], v[112:113]
	v_add_f64 v[34:35], v[34:35], -v[112:113]
	v_add_f64 v[8:9], v[8:9], v[14:15]
	v_add_f64 v[14:15], v[36:37], v[16:17]
	;; [unrolled: 1-line block ×4, first 2 shown]
	v_fma_f64 v[40:41], v[82:83], s[18:19], v[70:71]
	v_fma_f64 v[42:43], v[92:93], s[20:21], v[80:81]
	v_add_f64 v[36:37], v[32:33], v[110:111]
	v_add_f64 v[32:33], v[32:33], -v[110:111]
	v_fma_f64 v[40:41], v[96:97], s[12:13], v[40:41]
	v_fma_f64 v[42:43], v[98:99], s[16:17], v[42:43]
	;; [unrolled: 1-line block ×4, first 2 shown]
	v_mul_f64 v[44:45], v[40:41], s[22:23]
	v_mul_f64 v[40:41], v[40:41], s[16:17]
	v_fma_f64 v[62:63], v[42:43], s[12:13], v[44:45]
	v_fma_f64 v[42:43], v[42:43], s[22:23], v[40:41]
	;; [unrolled: 1-line block ×14, first 2 shown]
	v_fma_f64 v[30:31], v[6:7], -0.5, v[12:13]
	v_add_f64 v[6:7], v[142:143], v[14:15]
	v_add_f64 v[44:45], v[40:41], v[62:63]
	v_add_f64 v[40:41], v[40:41], -v[62:63]
	v_add_f64 v[62:63], v[48:49], v[52:53]
	v_fma_f64 v[48:49], v[98:99], s[18:19], v[58:59]
	v_add_f64 v[46:47], v[110:111], v[42:43]
	v_add_f64 v[42:43], v[110:111], -v[42:43]
	v_add_f64 v[110:111], v[50:51], v[54:55]
	v_fma_f64 v[50:51], v[96:97], s[20:21], v[56:57]
	v_fma_f64 v[56:57], v[96:97], s[18:19], v[56:57]
	;; [unrolled: 1-line block ×11, first 2 shown]
	v_mul_f64 v[52:53], v[48:49], s[18:19]
	v_mul_f64 v[60:61], v[56:57], s[24:25]
	v_fma_f64 v[104:105], v[50:51], s[14:15], v[52:53]
	v_mul_f64 v[50:51], v[50:51], s[20:21]
	v_fma_f64 v[52:53], v[68:69], s[18:19], v[26:27]
	v_fma_f64 v[26:27], v[68:69], s[20:21], v[26:27]
	;; [unrolled: 1-line block ×3, first 2 shown]
	v_mul_f64 v[58:59], v[58:59], s[24:25]
	v_fma_f64 v[50:51], v[48:49], s[14:15], v[50:51]
	v_fma_f64 v[48:49], v[66:67], s[20:21], v[22:23]
	;; [unrolled: 1-line block ×9, first 2 shown]
	v_fma_f64 v[28:29], v[154:155], -0.5, v[10:11]
	v_fma_f64 v[108:109], v[110:111], s[14:15], v[52:53]
	v_add_f64 v[110:111], v[152:153], v[20:21]
	v_fma_f64 v[48:49], v[62:63], s[14:15], v[48:49]
	v_fma_f64 v[22:23], v[62:63], s[14:15], v[22:23]
	v_add_f64 v[62:63], v[26:27], v[58:59]
	v_add_f64 v[58:59], v[26:27], -v[58:59]
	v_fma_f64 v[26:27], v[92:93], s[18:19], v[80:81]
	v_fma_f64 v[92:93], v[114:115], -0.5, v[2:3]
	v_add_f64 v[54:55], v[108:109], v[50:51]
	v_add_f64 v[50:51], v[108:109], -v[50:51]
	v_add_f64 v[108:109], v[146:147], v[18:19]
	v_fma_f64 v[18:19], v[84:85], s[20:21], v[28:29]
	v_fma_f64 v[28:29], v[84:85], s[18:19], v[28:29]
	v_add_f64 v[80:81], v[118:119], v[132:133]
	v_add_f64 v[52:53], v[48:49], v[104:105]
	;; [unrolled: 1-line block ×3, first 2 shown]
	v_add_f64 v[56:57], v[22:23], -v[94:95]
	v_fma_f64 v[22:23], v[82:83], s[20:21], v[70:71]
	v_fma_f64 v[26:27], v[98:99], s[12:13], v[26:27]
	v_fma_f64 v[94:95], v[120:121], -0.5, v[4:5]
	v_add_f64 v[48:49], v[48:49], -v[104:105]
	v_add_f64 v[104:105], v[150:151], v[158:159]
	v_add_f64 v[98:99], v[122:123], v[136:137]
	v_fma_f64 v[18:19], v[90:91], s[12:13], v[18:19]
	v_fma_f64 v[28:29], v[90:91], s[16:17], v[28:29]
	v_add_f64 v[82:83], v[124:125], v[138:139]
	v_fma_f64 v[22:23], v[96:97], s[16:17], v[22:23]
	v_fma_f64 v[24:25], v[106:107], s[14:15], v[26:27]
	v_add_f64 v[106:107], v[144:145], v[156:157]
	v_add_f64 v[96:97], v[116:117], v[130:131]
	v_fma_f64 v[18:19], v[108:109], s[14:15], v[18:19]
	v_fma_f64 v[28:29], v[108:109], s[14:15], v[28:29]
	;; [unrolled: 1-line block ×3, first 2 shown]
	v_fma_f64 v[102:103], v[134:135], -0.5, v[10:11]
	v_fma_f64 v[134:135], v[148:149], -0.5, v[12:13]
	v_mul_f64 v[26:27], v[22:23], s[26:27]
	v_fma_f64 v[10:11], v[88:89], s[20:21], v[134:135]
	v_fma_f64 v[26:27], v[24:25], s[12:13], v[26:27]
	v_mul_f64 v[24:25], v[24:25], s[26:27]
	v_fma_f64 v[10:11], v[86:87], s[16:17], v[10:11]
	v_add_f64 v[68:69], v[0:1], v[26:27]
	v_add_f64 v[64:65], v[0:1], -v[26:27]
	v_fma_f64 v[26:27], v[128:129], -0.5, v[4:5]
	v_add_f64 v[4:5], v[140:141], v[8:9]
	v_add_f64 v[0:1], v[140:141], -v[8:9]
	v_fma_f64 v[8:9], v[90:91], s[18:19], v[102:103]
	v_fma_f64 v[22:23], v[22:23], s[16:17], v[24:25]
	;; [unrolled: 1-line block ×3, first 2 shown]
	v_fma_f64 v[24:25], v[126:127], -0.5, v[2:3]
	v_add_f64 v[2:3], v[142:143], -v[14:15]
	v_fma_f64 v[90:91], v[90:91], s[20:21], v[102:103]
	v_fma_f64 v[8:9], v[84:85], s[12:13], v[8:9]
	v_add_f64 v[70:71], v[16:17], v[22:23]
	v_add_f64 v[66:67], v[16:17], -v[22:23]
	v_fma_f64 v[84:85], v[84:85], s[16:17], v[90:91]
	v_fma_f64 v[8:9], v[106:107], s[14:15], v[8:9]
	v_mul_f64 v[12:13], v[8:9], s[22:23]
	v_mul_f64 v[8:9], v[8:9], s[16:17]
	v_fma_f64 v[16:17], v[10:11], s[12:13], v[12:13]
	v_fma_f64 v[10:11], v[10:11], s[22:23], v[8:9]
	;; [unrolled: 1-line block ×8, first 2 shown]
	v_add_f64 v[12:13], v[8:9], v[16:17]
	v_add_f64 v[8:9], v[8:9], -v[16:17]
	v_fma_f64 v[16:17], v[86:87], s[18:19], v[30:31]
	v_fma_f64 v[30:31], v[86:87], s[20:21], v[30:31]
	v_add_f64 v[14:15], v[22:23], v[10:11]
	v_add_f64 v[10:11], v[22:23], -v[10:11]
	v_fma_f64 v[16:17], v[88:89], s[16:17], v[16:17]
	v_fma_f64 v[30:31], v[88:89], s[12:13], v[30:31]
	v_fma_f64 v[88:89], v[88:89], s[18:19], v[134:135]
	v_fma_f64 v[16:17], v[110:111], s[14:15], v[16:17]
	v_fma_f64 v[30:31], v[110:111], s[14:15], v[30:31]
	v_mul_f64 v[20:21], v[16:17], s[18:19]
	v_fma_f64 v[112:113], v[18:19], s[14:15], v[20:21]
	v_mul_f64 v[18:19], v[18:19], s[20:21]
	v_fma_f64 v[20:21], v[74:75], s[18:19], v[26:27]
	v_fma_f64 v[26:27], v[74:75], s[20:21], v[26:27]
	;; [unrolled: 1-line block ×17, first 2 shown]
	v_mul_f64 v[80:81], v[28:29], s[24:25]
	v_add_f64 v[22:23], v[114:115], v[18:19]
	v_add_f64 v[18:19], v[114:115], -v[18:19]
	v_fma_f64 v[72:73], v[72:73], s[16:17], v[76:77]
	v_fma_f64 v[76:77], v[86:87], s[12:13], v[88:89]
	v_mul_f64 v[84:85], v[78:79], s[26:27]
	v_fma_f64 v[74:75], v[98:99], s[14:15], v[74:75]
	v_add_f64 v[20:21], v[16:17], v[112:113]
	v_add_f64 v[16:17], v[16:17], -v[112:113]
	v_fma_f64 v[80:81], v[30:31], s[18:19], v[80:81]
	v_mul_f64 v[30:31], v[30:31], s[24:25]
	v_fma_f64 v[72:73], v[96:97], s[14:15], v[72:73]
	v_fma_f64 v[76:77], v[104:105], s[14:15], v[76:77]
	;; [unrolled: 1-line block ×3, first 2 shown]
	v_add_f64 v[28:29], v[24:25], v[80:81]
	v_add_f64 v[24:25], v[24:25], -v[80:81]
	v_fma_f64 v[84:85], v[76:77], s[12:13], v[84:85]
	v_mul_f64 v[76:77], v[76:77], s[26:27]
	v_add_f64 v[30:31], v[26:27], v[82:83]
	v_add_f64 v[26:27], v[26:27], -v[82:83]
	ds_read_b128 v[124:127], v100 offset:12288
	ds_read_b128 v[80:83], v100 offset:3072
	;; [unrolled: 1-line block ×5, first 2 shown]
	v_fma_f64 v[86:87], v[78:79], s[16:17], v[76:77]
	v_add_f64 v[76:77], v[72:73], v[84:85]
	v_add_f64 v[72:73], v[72:73], -v[84:85]
	s_waitcnt lgkmcnt(3)
	v_add_f64 v[108:109], v[80:81], v[124:125]
	s_waitcnt lgkmcnt(2)
	v_add_f64 v[120:121], v[124:125], -v[114:115]
	v_add_f64 v[122:123], v[126:127], -v[116:117]
	s_waitcnt lgkmcnt(0)
	v_add_f64 v[152:153], v[114:115], v[130:131]
	v_add_f64 v[112:113], v[116:117], -v[132:133]
	v_add_f64 v[154:155], v[116:117], v[132:133]
	v_add_f64 v[110:111], v[116:117], -v[126:127]
	;; [unrolled: 2-line block ×3, first 2 shown]
	v_add_f64 v[158:159], v[126:127], v[138:139]
	v_add_f64 v[78:79], v[74:75], v[86:87]
	v_add_f64 v[74:75], v[74:75], -v[86:87]
	v_add_f64 v[128:129], v[108:109], v[114:115]
	v_add_f64 v[108:109], v[82:83], v[126:127]
	v_fma_f64 v[102:103], v[152:153], -0.5, v[80:81]
	v_fma_f64 v[134:135], v[154:155], -0.5, v[82:83]
	;; [unrolled: 1-line block ×4, first 2 shown]
	v_add_f64 v[142:143], v[128:129], v[130:131]
	v_add_f64 v[140:141], v[108:109], v[116:117]
	v_add_f64 v[108:109], v[114:115], -v[124:125]
	v_add_f64 v[114:115], v[114:115], -v[130:131]
	;; [unrolled: 1-line block ×7, first 2 shown]
	v_add_f64 v[160:161], v[142:143], v[136:137]
	v_add_f64 v[140:141], v[140:141], v[132:133]
	;; [unrolled: 1-line block ×7, first 2 shown]
	ds_read_b128 v[136:139], v100 offset:7680
	ds_read_b128 v[140:143], v100 offset:16896
	;; [unrolled: 1-line block ×3, first 2 shown]
	s_waitcnt lgkmcnt(1)
	v_add_f64 v[148:149], v[136:137], v[140:141]
	s_waitcnt lgkmcnt(0)
	v_add_f64 v[170:171], v[140:141], -v[144:145]
	v_add_f64 v[172:173], v[144:145], -v[140:141]
	;; [unrolled: 1-line block ×4, first 2 shown]
	v_add_f64 v[162:163], v[148:149], v[144:145]
	v_add_f64 v[148:149], v[138:139], v[142:143]
	;; [unrolled: 1-line block ×3, first 2 shown]
	ds_read_b128 v[148:151], v100 offset:35328
	s_waitcnt lgkmcnt(0)
	v_add_f64 v[166:167], v[144:145], v[148:149]
	v_add_f64 v[168:169], v[146:147], -v[150:151]
	v_add_f64 v[174:175], v[146:147], v[150:151]
	v_add_f64 v[176:177], v[144:145], -v[148:149]
	ds_read_b128 v[144:147], v100 offset:44544
	v_add_f64 v[164:165], v[164:165], v[150:151]
	v_add_f64 v[162:163], v[162:163], v[148:149]
	s_waitcnt lgkmcnt(0)
	s_barrier
	buffer_gl0_inv
	v_fma_f64 v[152:153], v[166:167], -0.5, v[136:137]
	v_add_f64 v[182:183], v[142:143], -v[146:147]
	v_add_f64 v[184:185], v[140:141], v[144:145]
	v_add_f64 v[140:141], v[140:141], -v[144:145]
	v_add_f64 v[142:143], v[142:143], v[146:147]
	v_add_f64 v[186:187], v[144:145], -v[148:149]
	v_add_f64 v[188:189], v[146:147], -v[150:151]
	;; [unrolled: 1-line block ×3, first 2 shown]
	v_add_f64 v[146:147], v[164:165], v[146:147]
	v_fma_f64 v[154:155], v[174:175], -0.5, v[138:139]
	v_add_f64 v[148:149], v[148:149], -v[144:145]
	v_add_f64 v[144:145], v[162:163], v[144:145]
	v_fma_f64 v[88:89], v[182:183], s[18:19], v[152:153]
	v_fma_f64 v[136:137], v[184:185], -0.5, v[136:137]
	v_fma_f64 v[138:139], v[142:143], -0.5, v[138:139]
	v_add_f64 v[142:143], v[178:179], v[188:189]
	v_add_f64 v[126:127], v[180:181], v[150:151]
	;; [unrolled: 1-line block ×3, first 2 shown]
	v_add_f64 v[86:87], v[132:133], -v[146:147]
	v_add_f64 v[132:133], v[170:171], v[186:187]
	v_fma_f64 v[90:91], v[140:141], s[20:21], v[154:155]
	v_add_f64 v[124:125], v[172:173], v[148:149]
	v_add_f64 v[80:81], v[160:161], v[144:145]
	v_add_f64 v[84:85], v[160:161], -v[144:145]
	v_fma_f64 v[88:89], v[168:169], s[12:13], v[88:89]
	v_fma_f64 v[90:91], v[176:177], s[16:17], v[90:91]
	;; [unrolled: 1-line block ×4, first 2 shown]
	v_mul_f64 v[92:93], v[88:89], s[22:23]
	v_mul_f64 v[88:89], v[88:89], s[16:17]
	v_fma_f64 v[96:97], v[90:91], s[12:13], v[92:93]
	v_fma_f64 v[90:91], v[90:91], s[22:23], v[88:89]
	;; [unrolled: 1-line block ×11, first 2 shown]
	v_add_f64 v[92:93], v[88:89], v[96:97]
	v_add_f64 v[88:89], v[88:89], -v[96:97]
	v_fma_f64 v[96:97], v[176:177], s[18:19], v[138:139]
	v_add_f64 v[94:95], v[98:99], v[90:91]
	v_add_f64 v[90:91], v[98:99], -v[90:91]
	v_fma_f64 v[98:99], v[168:169], s[20:21], v[136:137]
	v_fma_f64 v[96:97], v[140:141], s[16:17], v[96:97]
	;; [unrolled: 1-line block ×5, first 2 shown]
	v_mul_f64 v[120:121], v[96:97], s[18:19]
	v_fma_f64 v[144:145], v[98:99], s[14:15], v[120:121]
	v_mul_f64 v[98:99], v[98:99], s[20:21]
	v_fma_f64 v[120:121], v[114:115], s[18:19], v[106:107]
	v_fma_f64 v[106:107], v[114:115], s[20:21], v[106:107]
	;; [unrolled: 1-line block ×17, first 2 shown]
	v_add_f64 v[122:123], v[146:147], v[98:99]
	v_fma_f64 v[110:111], v[140:141], s[12:13], v[110:111]
	v_fma_f64 v[112:113], v[114:115], s[12:13], v[116:117]
	;; [unrolled: 1-line block ×3, first 2 shown]
	v_add_f64 v[98:99], v[146:147], -v[98:99]
	v_add_f64 v[120:121], v[96:97], v[144:145]
	v_add_f64 v[96:97], v[96:97], -v[144:145]
	v_fma_f64 v[108:109], v[182:183], s[16:17], v[108:109]
	v_fma_f64 v[110:111], v[126:127], s[14:15], v[110:111]
	;; [unrolled: 1-line block ×5, first 2 shown]
	v_mul_f64 v[124:125], v[108:109], s[24:25]
	v_fma_f64 v[124:125], v[110:111], s[18:19], v[124:125]
	v_mul_f64 v[110:111], v[110:111], s[24:25]
	v_fma_f64 v[126:127], v[108:109], s[20:21], v[110:111]
	v_add_f64 v[108:109], v[104:105], v[124:125]
	v_add_f64 v[104:105], v[104:105], -v[124:125]
	v_fma_f64 v[124:125], v[182:183], s[20:21], v[152:153]
	v_add_f64 v[110:111], v[106:107], v[126:127]
	v_add_f64 v[106:107], v[106:107], -v[126:127]
	v_fma_f64 v[124:125], v[168:169], s[16:17], v[124:125]
	v_fma_f64 v[116:117], v[132:133], s[14:15], v[124:125]
	v_mul_f64 v[114:115], v[116:117], s[26:27]
	v_fma_f64 v[124:125], v[112:113], s[12:13], v[114:115]
	v_mul_f64 v[112:113], v[112:113], s[26:27]
	v_fma_f64 v[126:127], v[116:117], s[16:17], v[112:113]
	v_add_f64 v[112:113], v[102:103], v[124:125]
	v_add_f64 v[116:117], v[102:103], -v[124:125]
	v_mul_lo_u16 v102, v101, 10
	v_mov_b32_e32 v124, 4
	v_add_co_u32 v125, null, 0xc0, v192
	v_lshlrev_b32_sdwa v253, v124, v102 dst_sel:DWORD dst_unused:UNUSED_PAD src0_sel:DWORD src1_sel:WORD_0
	ds_write_b128 v253, v[36:39]
	ds_write_b128 v253, v[44:47] offset:16
	ds_write_b128 v253, v[52:55] offset:32
	;; [unrolled: 1-line block ×9, first 2 shown]
	v_add_f64 v[114:115], v[118:119], v[126:127]
	v_add_f64 v[118:119], v[118:119], -v[126:127]
	v_add_co_u32 v126, null, 0x60, v192
	v_mul_u32_u24_e32 v32, 10, v126
	v_lshlrev_b32_e32 v251, 4, v32
	ds_write_b128 v251, v[4:7]
	ds_write_b128 v251, v[12:15] offset:16
	ds_write_b128 v251, v[20:23] offset:32
	ds_write_b128 v251, v[28:31] offset:48
	ds_write_b128 v251, v[76:79] offset:64
	ds_write_b128 v251, v[0:3] offset:80
	ds_write_b128 v251, v[8:11] offset:96
	ds_write_b128 v251, v[16:19] offset:112
	ds_write_b128 v251, v[24:27] offset:128
	ds_write_b128 v251, v[72:75] offset:144
	v_mul_u32_u24_e32 v0, 10, v125
	v_lshlrev_b32_e32 v252, 4, v0
	v_and_b32_e32 v0, 0xff, v101
	ds_write_b128 v252, v[80:83]
	ds_write_b128 v252, v[92:95] offset:16
	ds_write_b128 v252, v[120:123] offset:32
	;; [unrolled: 1-line block ×9, first 2 shown]
	v_mul_lo_u16 v0, 0xcd, v0
	s_waitcnt lgkmcnt(0)
	s_barrier
	buffer_gl0_inv
	v_and_b32_e32 v123, 0xff, v126
	v_lshrrev_b16 v121, 11, v0
	v_add_co_u32 v120, s30, 0x120, v192
	v_mul_lo_u16 v0, v121, 10
	v_sub_nc_u16 v0, v101, v0
	v_and_b32_e32 v122, 0xff, v0
	v_mad_u64_u32 v[4:5], null, 0x50, v122, s[10:11]
	global_load_dwordx4 v[10:13], v[4:5], off
	s_waitcnt vmcnt(0)
	buffer_store_dword v10, off, s[36:39], 0 offset:1020 ; 4-byte Folded Spill
	buffer_store_dword v11, off, s[36:39], 0 offset:1024 ; 4-byte Folded Spill
	;; [unrolled: 1-line block ×4, first 2 shown]
	global_load_dwordx4 v[14:17], v[4:5], off offset:16
	ds_read_b128 v[0:3], v100 offset:7680
	s_waitcnt vmcnt(0)
	buffer_store_dword v14, off, s[36:39], 0 offset:1036 ; 4-byte Folded Spill
	buffer_store_dword v15, off, s[36:39], 0 offset:1040 ; 4-byte Folded Spill
	buffer_store_dword v16, off, s[36:39], 0 offset:1044 ; 4-byte Folded Spill
	buffer_store_dword v17, off, s[36:39], 0 offset:1048 ; 4-byte Folded Spill
	global_load_dwordx4 v[18:21], v[4:5], off offset:32
	s_waitcnt lgkmcnt(0)
	v_mul_f64 v[6:7], v[2:3], v[12:13]
	v_fma_f64 v[8:9], v[0:1], v[10:11], -v[6:7]
	v_mul_f64 v[0:1], v[0:1], v[12:13]
	v_fma_f64 v[10:11], v[2:3], v[10:11], v[0:1]
	ds_read_b128 v[0:3], v100 offset:15360
	s_waitcnt vmcnt(0)
	buffer_store_dword v18, off, s[36:39], 0 offset:1052 ; 4-byte Folded Spill
	buffer_store_dword v19, off, s[36:39], 0 offset:1056 ; 4-byte Folded Spill
	buffer_store_dword v20, off, s[36:39], 0 offset:1060 ; 4-byte Folded Spill
	buffer_store_dword v21, off, s[36:39], 0 offset:1064 ; 4-byte Folded Spill
	global_load_dwordx4 v[22:25], v[4:5], off offset:48
	s_waitcnt lgkmcnt(0)
	v_mul_f64 v[6:7], v[2:3], v[16:17]
	v_fma_f64 v[12:13], v[0:1], v[14:15], -v[6:7]
	v_mul_f64 v[0:1], v[0:1], v[16:17]
	v_fma_f64 v[14:15], v[2:3], v[14:15], v[0:1]
	;; [unrolled: 12-line block ×3, first 2 shown]
	ds_read_b128 v[0:3], v100 offset:30720
	s_waitcnt vmcnt(0)
	buffer_store_dword v26, off, s[36:39], 0 offset:1084 ; 4-byte Folded Spill
	buffer_store_dword v27, off, s[36:39], 0 offset:1088 ; 4-byte Folded Spill
	;; [unrolled: 1-line block ×4, first 2 shown]
	s_waitcnt lgkmcnt(0)
	v_mul_f64 v[6:7], v[2:3], v[24:25]
	v_fma_f64 v[20:21], v[0:1], v[22:23], -v[6:7]
	v_mul_f64 v[0:1], v[0:1], v[24:25]
	v_fma_f64 v[22:23], v[2:3], v[22:23], v[0:1]
	ds_read_b128 v[0:3], v100 offset:38400
	s_waitcnt lgkmcnt(0)
	v_mul_f64 v[4:5], v[2:3], v[28:29]
	v_fma_f64 v[24:25], v[0:1], v[26:27], -v[4:5]
	v_mul_f64 v[0:1], v[0:1], v[28:29]
	v_fma_f64 v[26:27], v[2:3], v[26:27], v[0:1]
	v_mul_lo_u16 v0, 0xcd, v123
	v_lshrrev_b16 v127, 11, v0
	v_mul_lo_u16 v0, v127, 10
	v_sub_nc_u16 v0, v126, v0
	v_and_b32_e32 v128, 0xff, v0
	v_mad_u64_u32 v[4:5], null, 0x50, v128, s[10:11]
	global_load_dwordx4 v[28:31], v[4:5], off
	s_waitcnt vmcnt(0)
	buffer_store_dword v28, off, s[36:39], 0 offset:1112 ; 4-byte Folded Spill
	buffer_store_dword v29, off, s[36:39], 0 offset:1116 ; 4-byte Folded Spill
	buffer_store_dword v30, off, s[36:39], 0 offset:1120 ; 4-byte Folded Spill
	buffer_store_dword v31, off, s[36:39], 0 offset:1124 ; 4-byte Folded Spill
	ds_read_b128 v[0:3], v100 offset:9216
	s_waitcnt lgkmcnt(0)
	v_mul_f64 v[6:7], v[2:3], v[30:31]
	v_fma_f64 v[32:33], v[0:1], v[28:29], -v[6:7]
	v_mul_f64 v[0:1], v[0:1], v[30:31]
	v_fma_f64 v[34:35], v[2:3], v[28:29], v[0:1]
	global_load_dwordx4 v[28:31], v[4:5], off offset:16
	s_waitcnt vmcnt(0)
	buffer_store_dword v28, off, s[36:39], 0 offset:1128 ; 4-byte Folded Spill
	buffer_store_dword v29, off, s[36:39], 0 offset:1132 ; 4-byte Folded Spill
	buffer_store_dword v30, off, s[36:39], 0 offset:1136 ; 4-byte Folded Spill
	buffer_store_dword v31, off, s[36:39], 0 offset:1140 ; 4-byte Folded Spill
	ds_read_b128 v[0:3], v100 offset:16896
	s_waitcnt lgkmcnt(0)
	v_mul_f64 v[6:7], v[2:3], v[30:31]
	v_fma_f64 v[36:37], v[0:1], v[28:29], -v[6:7]
	v_mul_f64 v[0:1], v[0:1], v[30:31]
	v_fma_f64 v[38:39], v[2:3], v[28:29], v[0:1]
	global_load_dwordx4 v[28:31], v[4:5], off offset:32
	;; [unrolled: 12-line block ×4, first 2 shown]
	s_waitcnt vmcnt(0)
	buffer_store_dword v28, off, s[36:39], 0 offset:1176 ; 4-byte Folded Spill
	buffer_store_dword v29, off, s[36:39], 0 offset:1180 ; 4-byte Folded Spill
	;; [unrolled: 1-line block ×4, first 2 shown]
	ds_read_b128 v[0:3], v100 offset:39936
	s_waitcnt lgkmcnt(0)
	v_mul_f64 v[4:5], v[2:3], v[30:31]
	v_fma_f64 v[48:49], v[0:1], v[28:29], -v[4:5]
	v_mul_f64 v[0:1], v[0:1], v[30:31]
	v_fma_f64 v[50:51], v[2:3], v[28:29], v[0:1]
	v_mov_b32_e32 v28, 0xcccd
	v_mul_u32_u24_sdwa v0, v125, v28 dst_sel:DWORD dst_unused:UNUSED_PAD src0_sel:WORD_0 src1_sel:DWORD
	v_lshrrev_b32_e32 v129, 19, v0
	v_mul_lo_u16 v0, v129, 10
	v_sub_nc_u16 v130, v125, v0
	v_mul_lo_u16 v0, 0x50, v130
	v_and_b32_e32 v0, 0xffff, v0
	v_add_co_u32 v4, s6, s10, v0
	v_add_co_ci_u32_e64 v5, null, s11, 0, s6
	global_load_dwordx4 v[52:55], v[4:5], off
	s_waitcnt vmcnt(0)
	buffer_store_dword v52, off, s[36:39], 0 offset:1192 ; 4-byte Folded Spill
	buffer_store_dword v53, off, s[36:39], 0 offset:1196 ; 4-byte Folded Spill
	buffer_store_dword v54, off, s[36:39], 0 offset:1200 ; 4-byte Folded Spill
	buffer_store_dword v55, off, s[36:39], 0 offset:1204 ; 4-byte Folded Spill
	ds_read_b128 v[0:3], v100 offset:10752
	s_waitcnt lgkmcnt(0)
	v_mul_f64 v[6:7], v[2:3], v[54:55]
	v_fma_f64 v[56:57], v[0:1], v[52:53], -v[6:7]
	v_mul_f64 v[0:1], v[0:1], v[54:55]
	v_fma_f64 v[58:59], v[2:3], v[52:53], v[0:1]
	global_load_dwordx4 v[52:55], v[4:5], off offset:16
	s_waitcnt vmcnt(0)
	buffer_store_dword v52, off, s[36:39], 0 offset:1212 ; 4-byte Folded Spill
	buffer_store_dword v53, off, s[36:39], 0 offset:1216 ; 4-byte Folded Spill
	buffer_store_dword v54, off, s[36:39], 0 offset:1220 ; 4-byte Folded Spill
	buffer_store_dword v55, off, s[36:39], 0 offset:1224 ; 4-byte Folded Spill
	ds_read_b128 v[0:3], v100 offset:18432
	s_waitcnt lgkmcnt(0)
	v_mul_f64 v[6:7], v[2:3], v[54:55]
	v_fma_f64 v[60:61], v[0:1], v[52:53], -v[6:7]
	v_mul_f64 v[0:1], v[0:1], v[54:55]
	v_fma_f64 v[62:63], v[2:3], v[52:53], v[0:1]
	global_load_dwordx4 v[52:55], v[4:5], off offset:32
	;; [unrolled: 12-line block ×4, first 2 shown]
	s_waitcnt vmcnt(0)
	buffer_store_dword v52, off, s[36:39], 0 offset:1260 ; 4-byte Folded Spill
	buffer_store_dword v53, off, s[36:39], 0 offset:1264 ; 4-byte Folded Spill
	;; [unrolled: 1-line block ×4, first 2 shown]
	ds_read_b128 v[0:3], v100 offset:41472
	s_waitcnt lgkmcnt(0)
	v_mul_f64 v[4:5], v[2:3], v[54:55]
	v_fma_f64 v[72:73], v[0:1], v[52:53], -v[4:5]
	v_mul_f64 v[0:1], v[0:1], v[54:55]
	v_fma_f64 v[74:75], v[2:3], v[52:53], v[0:1]
	v_mul_u32_u24_sdwa v0, v120, v28 dst_sel:DWORD dst_unused:UNUSED_PAD src0_sel:WORD_0 src1_sel:DWORD
	v_lshrrev_b32_e32 v131, 19, v0
	v_mul_lo_u16 v0, v131, 10
	v_sub_nc_u16 v132, v120, v0
	v_mul_lo_u16 v0, 0x50, v132
	v_and_b32_e32 v0, 0xffff, v0
	v_add_co_u32 v4, s6, s10, v0
	v_add_co_ci_u32_e64 v5, null, s11, 0, s6
	global_load_dwordx4 v[28:31], v[4:5], off
	s_waitcnt vmcnt(0)
	buffer_store_dword v28, off, s[36:39], 0 offset:1276 ; 4-byte Folded Spill
	buffer_store_dword v29, off, s[36:39], 0 offset:1280 ; 4-byte Folded Spill
	buffer_store_dword v30, off, s[36:39], 0 offset:1284 ; 4-byte Folded Spill
	buffer_store_dword v31, off, s[36:39], 0 offset:1288 ; 4-byte Folded Spill
	ds_read_b128 v[0:3], v100 offset:12288
	s_waitcnt lgkmcnt(0)
	v_mul_f64 v[6:7], v[2:3], v[30:31]
	v_fma_f64 v[80:81], v[0:1], v[28:29], -v[6:7]
	v_mul_f64 v[0:1], v[0:1], v[30:31]
	v_fma_f64 v[82:83], v[2:3], v[28:29], v[0:1]
	global_load_dwordx4 v[28:31], v[4:5], off offset:16
	s_waitcnt vmcnt(0)
	buffer_store_dword v28, off, s[36:39], 0 offset:1292 ; 4-byte Folded Spill
	buffer_store_dword v29, off, s[36:39], 0 offset:1296 ; 4-byte Folded Spill
	buffer_store_dword v30, off, s[36:39], 0 offset:1300 ; 4-byte Folded Spill
	buffer_store_dword v31, off, s[36:39], 0 offset:1304 ; 4-byte Folded Spill
	ds_read_b128 v[0:3], v100 offset:19968
	s_waitcnt lgkmcnt(0)
	v_mul_f64 v[6:7], v[2:3], v[30:31]
	v_fma_f64 v[84:85], v[0:1], v[28:29], -v[6:7]
	v_mul_f64 v[0:1], v[0:1], v[30:31]
	v_fma_f64 v[86:87], v[2:3], v[28:29], v[0:1]
	global_load_dwordx4 v[28:31], v[4:5], off offset:32
	;; [unrolled: 12-line block ×4, first 2 shown]
	s_waitcnt vmcnt(0)
	buffer_store_dword v28, off, s[36:39], 0 offset:1340 ; 4-byte Folded Spill
	buffer_store_dword v29, off, s[36:39], 0 offset:1344 ; 4-byte Folded Spill
	buffer_store_dword v30, off, s[36:39], 0 offset:1348 ; 4-byte Folded Spill
	buffer_store_dword v31, off, s[36:39], 0 offset:1352 ; 4-byte Folded Spill
	ds_read_b128 v[0:3], v100 offset:43008
	s_waitcnt lgkmcnt(0)
	v_mul_f64 v[4:5], v[2:3], v[30:31]
	v_fma_f64 v[116:117], v[0:1], v[28:29], -v[4:5]
	v_mul_f64 v[0:1], v[0:1], v[30:31]
	v_fma_f64 v[135:136], v[2:3], v[28:29], v[0:1]
	v_mul_u32_u24_e32 v0, 0xcccd, v190
	v_lshrrev_b32_e32 v133, 19, v0
	v_mul_lo_u16 v0, v133, 10
	v_sub_nc_u16 v134, v190, v0
	v_mul_lo_u16 v0, 0x50, v134
	v_and_b32_e32 v0, 0xffff, v0
	v_add_co_u32 v4, s6, s10, v0
	v_add_co_ci_u32_e64 v5, null, s11, 0, s6
	s_mov_b32 s6, 0xe8584caa
	s_mov_b32 s7, 0x3febb67a
	s_mov_b32 s8, s6
	global_load_dwordx4 v[28:31], v[4:5], off
	s_waitcnt vmcnt(0)
	buffer_store_dword v28, off, s[36:39], 0 offset:1356 ; 4-byte Folded Spill
	buffer_store_dword v29, off, s[36:39], 0 offset:1360 ; 4-byte Folded Spill
	buffer_store_dword v30, off, s[36:39], 0 offset:1364 ; 4-byte Folded Spill
	buffer_store_dword v31, off, s[36:39], 0 offset:1368 ; 4-byte Folded Spill
	ds_read_b128 v[0:3], v100 offset:13824
	s_waitcnt lgkmcnt(0)
	v_mul_f64 v[6:7], v[2:3], v[30:31]
	v_fma_f64 v[96:97], v[0:1], v[28:29], -v[6:7]
	v_mul_f64 v[0:1], v[0:1], v[30:31]
	v_fma_f64 v[98:99], v[2:3], v[28:29], v[0:1]
	global_load_dwordx4 v[28:31], v[4:5], off offset:16
	s_waitcnt vmcnt(0)
	buffer_store_dword v28, off, s[36:39], 0 offset:1372 ; 4-byte Folded Spill
	buffer_store_dword v29, off, s[36:39], 0 offset:1376 ; 4-byte Folded Spill
	buffer_store_dword v30, off, s[36:39], 0 offset:1380 ; 4-byte Folded Spill
	buffer_store_dword v31, off, s[36:39], 0 offset:1384 ; 4-byte Folded Spill
	ds_read_b128 v[0:3], v100 offset:21504
	s_waitcnt lgkmcnt(0)
	v_mul_f64 v[6:7], v[2:3], v[30:31]
	v_fma_f64 v[118:119], v[0:1], v[28:29], -v[6:7]
	v_mul_f64 v[0:1], v[0:1], v[30:31]
	v_fma_f64 v[102:103], v[2:3], v[28:29], v[0:1]
	global_load_dwordx4 v[28:31], v[4:5], off offset:32
	;; [unrolled: 12-line block ×4, first 2 shown]
	s_waitcnt vmcnt(0)
	buffer_store_dword v28, off, s[36:39], 0 offset:1420 ; 4-byte Folded Spill
	buffer_store_dword v29, off, s[36:39], 0 offset:1424 ; 4-byte Folded Spill
	;; [unrolled: 1-line block ×4, first 2 shown]
	ds_read_b128 v[0:3], v100 offset:44544
	s_waitcnt lgkmcnt(0)
	v_mul_f64 v[4:5], v[2:3], v[30:31]
	v_fma_f64 v[114:115], v[0:1], v[28:29], -v[4:5]
	v_mul_f64 v[0:1], v[0:1], v[30:31]
	v_add_f64 v[4:5], v[12:13], v[20:21]
	v_fma_f64 v[112:113], v[2:3], v[28:29], v[0:1]
	ds_read_b128 v[0:3], v100
	s_waitcnt lgkmcnt(0)
	v_fma_f64 v[28:29], v[4:5], -0.5, v[0:1]
	v_add_f64 v[4:5], v[14:15], v[22:23]
	v_add_f64 v[0:1], v[0:1], v[12:13]
	v_fma_f64 v[30:31], v[4:5], -0.5, v[2:3]
	v_add_f64 v[4:5], v[8:9], v[16:17]
	v_add_f64 v[0:1], v[0:1], v[20:21]
	v_add_f64 v[2:3], v[2:3], v[14:15]
	v_add_f64 v[20:21], v[12:13], -v[20:21]
	v_add_f64 v[52:53], v[4:5], v[24:25]
	v_add_f64 v[4:5], v[10:11], v[18:19]
	v_add_f64 v[2:3], v[2:3], v[22:23]
	v_add_f64 v[22:23], v[14:15], -v[22:23]
	v_add_f64 v[54:55], v[4:5], v[26:27]
	v_add_f64 v[4:5], v[0:1], v[52:53]
	v_add_f64 v[0:1], v[0:1], -v[52:53]
	v_add_f64 v[52:53], v[18:19], v[26:27]
	v_add_f64 v[18:19], v[18:19], -v[26:27]
	v_add_f64 v[6:7], v[2:3], v[54:55]
	v_add_f64 v[2:3], v[2:3], -v[54:55]
	v_fma_f64 v[54:55], v[20:21], s[8:9], v[30:31]
	v_fma_f64 v[52:53], v[52:53], -0.5, v[10:11]
	v_add_f64 v[10:11], v[16:17], v[24:25]
	v_add_f64 v[16:17], v[16:17], -v[24:25]
	v_fma_f64 v[24:25], v[10:11], -0.5, v[8:9]
	v_fma_f64 v[8:9], v[16:17], s[8:9], v[52:53]
	v_fma_f64 v[16:17], v[16:17], s[6:7], v[52:53]
	v_fma_f64 v[10:11], v[18:19], s[6:7], v[24:25]
	v_mul_f64 v[12:13], v[8:9], s[6:7]
	v_fma_f64 v[18:19], v[18:19], s[8:9], v[24:25]
	v_fma_f64 v[24:25], v[22:23], s[8:9], v[28:29]
	v_fma_f64 v[26:27], v[10:11], 0.5, v[12:13]
	v_mul_f64 v[10:11], v[10:11], s[8:9]
	v_fma_f64 v[10:11], v[8:9], 0.5, v[10:11]
	v_fma_f64 v[8:9], v[22:23], s[6:7], v[28:29]
	v_add_f64 v[14:15], v[54:55], v[10:11]
	v_add_f64 v[12:13], v[8:9], v[26:27]
	v_add_f64 v[8:9], v[8:9], -v[26:27]
	v_fma_f64 v[26:27], v[20:21], s[6:7], v[30:31]
	v_mul_f64 v[20:21], v[18:19], -0.5
	v_add_f64 v[10:11], v[54:55], -v[10:11]
	v_fma_f64 v[28:29], v[16:17], s[6:7], v[20:21]
	v_mul_f64 v[16:17], v[16:17], -0.5
	v_add_f64 v[20:21], v[24:25], v[28:29]
	v_fma_f64 v[18:19], v[18:19], s[8:9], v[16:17]
	v_add_f64 v[16:17], v[24:25], -v[28:29]
	v_add_f64 v[28:29], v[36:37], v[44:45]
	v_add_f64 v[22:23], v[26:27], v[18:19]
	v_add_f64 v[18:19], v[26:27], -v[18:19]
	ds_read_b128 v[24:27], v100 offset:1536
	s_waitcnt lgkmcnt(0)
	v_fma_f64 v[52:53], v[28:29], -0.5, v[24:25]
	v_add_f64 v[28:29], v[38:39], v[46:47]
	v_add_f64 v[24:25], v[24:25], v[36:37]
	v_fma_f64 v[54:55], v[28:29], -0.5, v[26:27]
	v_add_f64 v[28:29], v[32:33], v[40:41]
	v_add_f64 v[24:25], v[24:25], v[44:45]
	v_add_f64 v[26:27], v[26:27], v[38:39]
	v_add_f64 v[44:45], v[36:37], -v[44:45]
	v_add_f64 v[76:77], v[28:29], v[48:49]
	v_add_f64 v[28:29], v[34:35], v[42:43]
	v_add_f64 v[26:27], v[26:27], v[46:47]
	v_add_f64 v[46:47], v[38:39], -v[46:47]
	v_add_f64 v[78:79], v[28:29], v[50:51]
	v_add_f64 v[28:29], v[24:25], v[76:77]
	v_add_f64 v[24:25], v[24:25], -v[76:77]
	v_add_f64 v[76:77], v[42:43], v[50:51]
	v_add_f64 v[42:43], v[42:43], -v[50:51]
	v_add_f64 v[30:31], v[26:27], v[78:79]
	v_add_f64 v[26:27], v[26:27], -v[78:79]
	v_fma_f64 v[78:79], v[44:45], s[8:9], v[54:55]
	v_fma_f64 v[76:77], v[76:77], -0.5, v[34:35]
	v_add_f64 v[34:35], v[40:41], v[48:49]
	v_add_f64 v[40:41], v[40:41], -v[48:49]
	v_fma_f64 v[48:49], v[34:35], -0.5, v[32:33]
	v_fma_f64 v[32:33], v[40:41], s[8:9], v[76:77]
	v_fma_f64 v[40:41], v[40:41], s[6:7], v[76:77]
	v_fma_f64 v[34:35], v[42:43], s[6:7], v[48:49]
	v_mul_f64 v[36:37], v[32:33], s[6:7]
	v_fma_f64 v[42:43], v[42:43], s[8:9], v[48:49]
	v_fma_f64 v[48:49], v[46:47], s[8:9], v[52:53]
	v_fma_f64 v[50:51], v[34:35], 0.5, v[36:37]
	v_mul_f64 v[34:35], v[34:35], s[8:9]
	v_fma_f64 v[34:35], v[32:33], 0.5, v[34:35]
	v_fma_f64 v[32:33], v[46:47], s[6:7], v[52:53]
	v_add_f64 v[38:39], v[78:79], v[34:35]
	v_add_f64 v[36:37], v[32:33], v[50:51]
	v_add_f64 v[32:33], v[32:33], -v[50:51]
	v_fma_f64 v[50:51], v[44:45], s[6:7], v[54:55]
	v_mul_f64 v[44:45], v[42:43], -0.5
	v_add_f64 v[34:35], v[78:79], -v[34:35]
	v_fma_f64 v[52:53], v[40:41], s[6:7], v[44:45]
	v_mul_f64 v[40:41], v[40:41], -0.5
	v_add_f64 v[44:45], v[48:49], v[52:53]
	v_fma_f64 v[42:43], v[42:43], s[8:9], v[40:41]
	v_add_f64 v[40:41], v[48:49], -v[52:53]
	v_add_f64 v[52:53], v[60:61], v[68:69]
	v_add_f64 v[46:47], v[50:51], v[42:43]
	v_add_f64 v[42:43], v[50:51], -v[42:43]
	ds_read_b128 v[48:51], v100 offset:3072
	s_waitcnt lgkmcnt(0)
	v_fma_f64 v[76:77], v[52:53], -0.5, v[48:49]
	v_add_f64 v[52:53], v[62:63], v[70:71]
	v_add_f64 v[48:49], v[48:49], v[60:61]
	v_fma_f64 v[78:79], v[52:53], -0.5, v[50:51]
	v_add_f64 v[52:53], v[56:57], v[64:65]
	v_add_f64 v[48:49], v[48:49], v[68:69]
	v_add_f64 v[50:51], v[50:51], v[62:63]
	v_add_f64 v[68:69], v[60:61], -v[68:69]
	v_add_f64 v[137:138], v[52:53], v[72:73]
	v_add_f64 v[52:53], v[58:59], v[66:67]
	v_add_f64 v[50:51], v[50:51], v[70:71]
	v_add_f64 v[70:71], v[62:63], -v[70:71]
	v_add_f64 v[139:140], v[52:53], v[74:75]
	v_add_f64 v[52:53], v[48:49], v[137:138]
	v_add_f64 v[48:49], v[48:49], -v[137:138]
	v_add_f64 v[137:138], v[66:67], v[74:75]
	v_add_f64 v[66:67], v[66:67], -v[74:75]
	v_add_f64 v[54:55], v[50:51], v[139:140]
	v_add_f64 v[50:51], v[50:51], -v[139:140]
	v_fma_f64 v[139:140], v[68:69], s[8:9], v[78:79]
	v_fma_f64 v[137:138], v[137:138], -0.5, v[58:59]
	v_add_f64 v[58:59], v[64:65], v[72:73]
	v_add_f64 v[64:65], v[64:65], -v[72:73]
	v_fma_f64 v[72:73], v[58:59], -0.5, v[56:57]
	v_fma_f64 v[56:57], v[64:65], s[8:9], v[137:138]
	v_fma_f64 v[64:65], v[64:65], s[6:7], v[137:138]
	v_fma_f64 v[58:59], v[66:67], s[6:7], v[72:73]
	v_mul_f64 v[60:61], v[56:57], s[6:7]
	v_fma_f64 v[66:67], v[66:67], s[8:9], v[72:73]
	v_fma_f64 v[72:73], v[70:71], s[8:9], v[76:77]
	v_fma_f64 v[74:75], v[58:59], 0.5, v[60:61]
	v_mul_f64 v[58:59], v[58:59], s[8:9]
	v_fma_f64 v[58:59], v[56:57], 0.5, v[58:59]
	v_fma_f64 v[56:57], v[70:71], s[6:7], v[76:77]
	v_add_f64 v[62:63], v[139:140], v[58:59]
	v_add_f64 v[60:61], v[56:57], v[74:75]
	v_add_f64 v[56:57], v[56:57], -v[74:75]
	v_fma_f64 v[74:75], v[68:69], s[6:7], v[78:79]
	v_mul_f64 v[68:69], v[66:67], -0.5
	v_add_f64 v[58:59], v[139:140], -v[58:59]
	v_fma_f64 v[76:77], v[64:65], s[6:7], v[68:69]
	v_mul_f64 v[64:65], v[64:65], -0.5
	v_add_f64 v[68:69], v[72:73], v[76:77]
	v_fma_f64 v[66:67], v[66:67], s[8:9], v[64:65]
	v_add_f64 v[64:65], v[72:73], -v[76:77]
	v_add_f64 v[76:77], v[84:85], v[92:93]
	v_add_f64 v[70:71], v[74:75], v[66:67]
	v_add_f64 v[66:67], v[74:75], -v[66:67]
	ds_read_b128 v[72:75], v100 offset:4608
	s_waitcnt lgkmcnt(0)
	v_fma_f64 v[137:138], v[76:77], -0.5, v[72:73]
	v_add_f64 v[76:77], v[86:87], v[94:95]
	v_add_f64 v[72:73], v[72:73], v[84:85]
	v_fma_f64 v[139:140], v[76:77], -0.5, v[74:75]
	v_add_f64 v[76:77], v[80:81], v[88:89]
	v_add_f64 v[72:73], v[72:73], v[92:93]
	;; [unrolled: 1-line block ×3, first 2 shown]
	v_add_f64 v[92:93], v[84:85], -v[92:93]
	v_add_f64 v[141:142], v[76:77], v[116:117]
	v_add_f64 v[76:77], v[82:83], v[90:91]
	;; [unrolled: 1-line block ×3, first 2 shown]
	v_add_f64 v[94:95], v[86:87], -v[94:95]
	v_add_f64 v[143:144], v[76:77], v[135:136]
	v_add_f64 v[76:77], v[72:73], v[141:142]
	v_add_f64 v[72:73], v[72:73], -v[141:142]
	v_add_f64 v[141:142], v[90:91], v[135:136]
	v_add_f64 v[90:91], v[90:91], -v[135:136]
	;; [unrolled: 2-line block ×3, first 2 shown]
	v_fma_f64 v[143:144], v[92:93], s[8:9], v[139:140]
	v_fma_f64 v[141:142], v[141:142], -0.5, v[82:83]
	v_add_f64 v[82:83], v[88:89], v[116:117]
	v_add_f64 v[88:89], v[88:89], -v[116:117]
	v_fma_f64 v[116:117], v[82:83], -0.5, v[80:81]
	v_fma_f64 v[80:81], v[88:89], s[8:9], v[141:142]
	v_fma_f64 v[88:89], v[88:89], s[6:7], v[141:142]
	;; [unrolled: 1-line block ×3, first 2 shown]
	v_mul_f64 v[84:85], v[80:81], s[6:7]
	v_fma_f64 v[90:91], v[90:91], s[8:9], v[116:117]
	v_fma_f64 v[116:117], v[94:95], s[8:9], v[137:138]
	v_fma_f64 v[135:136], v[82:83], 0.5, v[84:85]
	v_mul_f64 v[82:83], v[82:83], s[8:9]
	v_fma_f64 v[82:83], v[80:81], 0.5, v[82:83]
	v_fma_f64 v[80:81], v[94:95], s[6:7], v[137:138]
	v_add_f64 v[86:87], v[143:144], v[82:83]
	v_add_f64 v[84:85], v[80:81], v[135:136]
	v_add_f64 v[80:81], v[80:81], -v[135:136]
	v_fma_f64 v[135:136], v[92:93], s[6:7], v[139:140]
	v_mul_f64 v[92:93], v[90:91], -0.5
	v_add_f64 v[139:140], v[102:103], v[110:111]
	v_add_f64 v[82:83], v[143:144], -v[82:83]
	v_fma_f64 v[137:138], v[88:89], s[6:7], v[92:93]
	v_mul_f64 v[88:89], v[88:89], -0.5
	v_add_f64 v[92:93], v[116:117], v[137:138]
	v_fma_f64 v[90:91], v[90:91], s[8:9], v[88:89]
	v_add_f64 v[88:89], v[116:117], -v[137:138]
	v_add_f64 v[116:117], v[118:119], v[108:109]
	v_add_f64 v[94:95], v[135:136], v[90:91]
	v_add_f64 v[90:91], v[135:136], -v[90:91]
	ds_read_b128 v[135:138], v100 offset:6144
	s_waitcnt lgkmcnt(0)
	v_fma_f64 v[116:117], v[116:117], -0.5, v[135:136]
	v_add_f64 v[135:136], v[135:136], v[118:119]
	v_fma_f64 v[143:144], v[139:140], -0.5, v[137:138]
	v_add_f64 v[137:138], v[137:138], v[102:103]
	v_add_f64 v[139:140], v[135:136], v[108:109]
	;; [unrolled: 1-line block ×4, first 2 shown]
	v_add_f64 v[108:109], v[118:119], -v[108:109]
	v_add_f64 v[110:111], v[102:103], -v[110:111]
	v_add_f64 v[145:146], v[135:136], v[114:115]
	v_add_f64 v[135:136], v[98:99], v[104:105]
	v_fma_f64 v[118:119], v[110:111], s[6:7], v[116:117]
	v_fma_f64 v[110:111], v[110:111], s[8:9], v[116:117]
	v_add_f64 v[147:148], v[135:136], v[112:113]
	v_add_f64 v[135:136], v[139:140], v[145:146]
	v_add_f64 v[139:140], v[139:140], -v[145:146]
	v_add_f64 v[145:146], v[104:105], v[112:113]
	v_add_f64 v[112:113], v[104:105], -v[112:113]
	;; [unrolled: 2-line block ×3, first 2 shown]
	v_fma_f64 v[147:148], v[108:109], s[8:9], v[143:144]
	v_fma_f64 v[145:146], v[145:146], -0.5, v[98:99]
	v_add_f64 v[98:99], v[106:107], v[114:115]
	v_add_f64 v[106:107], v[106:107], -v[114:115]
	v_fma_f64 v[114:115], v[98:99], -0.5, v[96:97]
	v_fma_f64 v[96:97], v[106:107], s[8:9], v[145:146]
	v_fma_f64 v[106:107], v[106:107], s[6:7], v[145:146]
	;; [unrolled: 1-line block ×5, first 2 shown]
	v_mul_f64 v[102:103], v[96:97], s[6:7]
	v_mul_f64 v[108:109], v[112:113], -0.5
	v_fma_f64 v[102:103], v[98:99], 0.5, v[102:103]
	v_mul_f64 v[98:99], v[98:99], s[8:9]
	v_fma_f64 v[116:117], v[106:107], s[6:7], v[108:109]
	v_mul_f64 v[106:107], v[106:107], -0.5
	v_fma_f64 v[104:105], v[96:97], 0.5, v[98:99]
	v_add_f64 v[96:97], v[118:119], v[102:103]
	v_add_f64 v[102:103], v[118:119], -v[102:103]
	v_fma_f64 v[112:113], v[112:113], s[8:9], v[106:107]
	v_add_f64 v[106:107], v[110:111], v[116:117]
	v_add_f64 v[98:99], v[147:148], v[104:105]
	v_add_f64 v[104:105], v[147:148], -v[104:105]
	v_add_f64 v[110:111], v[110:111], -v[116:117]
	v_add_f64 v[108:109], v[114:115], v[112:113]
	v_add_f64 v[112:113], v[114:115], -v[112:113]
	v_mov_b32_e32 v114, 60
	v_mul_u32_u24_sdwa v115, v121, v114 dst_sel:DWORD dst_unused:UNUSED_PAD src0_sel:WORD_0 src1_sel:DWORD
	v_add_lshl_u32 v115, v115, v122, 4
	buffer_store_dword v115, off, s[36:39], 0 offset:1208 ; 4-byte Folded Spill
	s_waitcnt_vscnt null, 0x0
	s_barrier
	buffer_gl0_inv
	ds_write_b128 v115, v[4:7]
	ds_write_b128 v115, v[12:15] offset:160
	ds_write_b128 v115, v[20:23] offset:320
	;; [unrolled: 1-line block ×5, first 2 shown]
	v_mul_u32_u24_sdwa v0, v127, v114 dst_sel:DWORD dst_unused:UNUSED_PAD src0_sel:WORD_0 src1_sel:DWORD
	v_add_lshl_u32 v0, v0, v128, 4
	buffer_store_dword v0, off, s[36:39], 0 offset:1108 ; 4-byte Folded Spill
	ds_write_b128 v0, v[28:31]
	ds_write_b128 v0, v[36:39] offset:160
	ds_write_b128 v0, v[44:47] offset:320
	ds_write_b128 v0, v[24:27] offset:480
	ds_write_b128 v0, v[32:35] offset:640
	ds_write_b128 v0, v[40:43] offset:800
	v_mad_u16 v0, v129, 60, v130
	v_lshlrev_b32_sdwa v0, v124, v0 dst_sel:DWORD dst_unused:UNUSED_PAD src0_sel:DWORD src1_sel:WORD_0
	buffer_store_dword v0, off, s[36:39], 0 offset:1104 ; 4-byte Folded Spill
	ds_write_b128 v0, v[52:55]
	ds_write_b128 v0, v[60:63] offset:160
	ds_write_b128 v0, v[68:71] offset:320
	ds_write_b128 v0, v[48:51] offset:480
	ds_write_b128 v0, v[56:59] offset:640
	ds_write_b128 v0, v[64:67] offset:800
	v_mad_u16 v0, v131, 60, v132
	v_lshlrev_b32_sdwa v0, v124, v0 dst_sel:DWORD dst_unused:UNUSED_PAD src0_sel:DWORD src1_sel:WORD_0
	;; [unrolled: 9-line block ×3, first 2 shown]
	buffer_store_dword v0, off, s[36:39], 0 offset:776 ; 4-byte Folded Spill
	ds_write_b128 v0, v[135:138]
	ds_write_b128 v0, v[96:99] offset:160
	ds_write_b128 v0, v[106:109] offset:320
	;; [unrolled: 1-line block ×5, first 2 shown]
	v_subrev_nc_u32_e32 v0, 60, v192
	s_waitcnt lgkmcnt(0)
	s_waitcnt_vscnt null, 0x0
	s_barrier
	buffer_gl0_inv
	v_cndmask_b32_e32 v137, v0, v192, vcc_lo
	v_mul_i32_i24_e32 v0, 0x50, v137
	v_mul_hi_i32_i24_e32 v1, 0x50, v137
	v_add_co_u32 v4, vcc_lo, s10, v0
	v_add_co_ci_u32_e32 v5, vcc_lo, s11, v1, vcc_lo
	v_cmp_lt_u16_e32 vcc_lo, 59, v101
	global_load_dwordx4 v[10:13], v[4:5], off offset:800
	s_waitcnt vmcnt(0)
	buffer_store_dword v10, off, s[36:39], 0 offset:616 ; 4-byte Folded Spill
	buffer_store_dword v11, off, s[36:39], 0 offset:620 ; 4-byte Folded Spill
	buffer_store_dword v12, off, s[36:39], 0 offset:624 ; 4-byte Folded Spill
	buffer_store_dword v13, off, s[36:39], 0 offset:628 ; 4-byte Folded Spill
	global_load_dwordx4 v[14:17], v[4:5], off offset:816
	ds_read_b128 v[0:3], v100 offset:7680
	s_waitcnt vmcnt(0)
	buffer_store_dword v14, off, s[36:39], 0 offset:632 ; 4-byte Folded Spill
	buffer_store_dword v15, off, s[36:39], 0 offset:636 ; 4-byte Folded Spill
	buffer_store_dword v16, off, s[36:39], 0 offset:640 ; 4-byte Folded Spill
	buffer_store_dword v17, off, s[36:39], 0 offset:644 ; 4-byte Folded Spill
	global_load_dwordx4 v[18:21], v[4:5], off offset:832
	s_waitcnt lgkmcnt(0)
	v_mul_f64 v[6:7], v[2:3], v[12:13]
	v_fma_f64 v[8:9], v[0:1], v[10:11], -v[6:7]
	v_mul_f64 v[0:1], v[0:1], v[12:13]
	v_fma_f64 v[10:11], v[2:3], v[10:11], v[0:1]
	ds_read_b128 v[0:3], v100 offset:15360
	s_waitcnt vmcnt(0)
	buffer_store_dword v18, off, s[36:39], 0 offset:648 ; 4-byte Folded Spill
	buffer_store_dword v19, off, s[36:39], 0 offset:652 ; 4-byte Folded Spill
	buffer_store_dword v20, off, s[36:39], 0 offset:656 ; 4-byte Folded Spill
	buffer_store_dword v21, off, s[36:39], 0 offset:660 ; 4-byte Folded Spill
	global_load_dwordx4 v[22:25], v[4:5], off offset:848
	s_waitcnt lgkmcnt(0)
	v_mul_f64 v[6:7], v[2:3], v[16:17]
	v_fma_f64 v[12:13], v[0:1], v[14:15], -v[6:7]
	v_mul_f64 v[0:1], v[0:1], v[16:17]
	v_fma_f64 v[14:15], v[2:3], v[14:15], v[0:1]
	;; [unrolled: 12-line block ×3, first 2 shown]
	ds_read_b128 v[0:3], v100 offset:30720
	s_waitcnt vmcnt(0)
	buffer_store_dword v26, off, s[36:39], 0 offset:680 ; 4-byte Folded Spill
	buffer_store_dword v27, off, s[36:39], 0 offset:684 ; 4-byte Folded Spill
	;; [unrolled: 1-line block ×4, first 2 shown]
	s_waitcnt lgkmcnt(0)
	v_mul_f64 v[6:7], v[2:3], v[24:25]
	v_fma_f64 v[20:21], v[0:1], v[22:23], -v[6:7]
	v_mul_f64 v[0:1], v[0:1], v[24:25]
	v_fma_f64 v[22:23], v[2:3], v[22:23], v[0:1]
	ds_read_b128 v[0:3], v100 offset:38400
	s_waitcnt lgkmcnt(0)
	v_mul_f64 v[4:5], v[2:3], v[28:29]
	v_fma_f64 v[24:25], v[0:1], v[26:27], -v[4:5]
	v_mul_f64 v[0:1], v[0:1], v[28:29]
	v_fma_f64 v[26:27], v[2:3], v[26:27], v[0:1]
	v_mul_lo_u16 v0, 0x89, v123
	v_lshrrev_b16 v123, 13, v0
	v_mul_lo_u16 v0, v123, 60
	v_sub_nc_u16 v0, v126, v0
	v_and_b32_e32 v138, 0xff, v0
	v_mad_u64_u32 v[4:5], null, 0x50, v138, s[10:11]
	global_load_dwordx4 v[28:31], v[4:5], off offset:800
	s_waitcnt vmcnt(0)
	buffer_store_dword v28, off, s[36:39], 0 offset:696 ; 4-byte Folded Spill
	buffer_store_dword v29, off, s[36:39], 0 offset:700 ; 4-byte Folded Spill
	buffer_store_dword v30, off, s[36:39], 0 offset:704 ; 4-byte Folded Spill
	buffer_store_dword v31, off, s[36:39], 0 offset:708 ; 4-byte Folded Spill
	ds_read_b128 v[0:3], v100 offset:9216
	s_waitcnt lgkmcnt(0)
	v_mul_f64 v[6:7], v[2:3], v[30:31]
	v_fma_f64 v[32:33], v[0:1], v[28:29], -v[6:7]
	v_mul_f64 v[0:1], v[0:1], v[30:31]
	v_fma_f64 v[34:35], v[2:3], v[28:29], v[0:1]
	global_load_dwordx4 v[28:31], v[4:5], off offset:816
	s_waitcnt vmcnt(0)
	buffer_store_dword v28, off, s[36:39], 0 offset:712 ; 4-byte Folded Spill
	buffer_store_dword v29, off, s[36:39], 0 offset:716 ; 4-byte Folded Spill
	buffer_store_dword v30, off, s[36:39], 0 offset:720 ; 4-byte Folded Spill
	buffer_store_dword v31, off, s[36:39], 0 offset:724 ; 4-byte Folded Spill
	ds_read_b128 v[0:3], v100 offset:16896
	s_waitcnt lgkmcnt(0)
	v_mul_f64 v[6:7], v[2:3], v[30:31]
	v_fma_f64 v[36:37], v[0:1], v[28:29], -v[6:7]
	v_mul_f64 v[0:1], v[0:1], v[30:31]
	v_fma_f64 v[38:39], v[2:3], v[28:29], v[0:1]
	global_load_dwordx4 v[28:31], v[4:5], off offset:832
	s_waitcnt vmcnt(0)
	buffer_store_dword v28, off, s[36:39], 0 offset:728 ; 4-byte Folded Spill
	buffer_store_dword v29, off, s[36:39], 0 offset:732 ; 4-byte Folded Spill
	buffer_store_dword v30, off, s[36:39], 0 offset:736 ; 4-byte Folded Spill
	buffer_store_dword v31, off, s[36:39], 0 offset:740 ; 4-byte Folded Spill
	ds_read_b128 v[0:3], v100 offset:24576
	s_waitcnt lgkmcnt(0)
	v_mul_f64 v[6:7], v[2:3], v[30:31]
	v_fma_f64 v[40:41], v[0:1], v[28:29], -v[6:7]
	v_mul_f64 v[0:1], v[0:1], v[30:31]
	v_fma_f64 v[42:43], v[2:3], v[28:29], v[0:1]
	global_load_dwordx4 v[28:31], v[4:5], off offset:848
	s_waitcnt vmcnt(0)
	buffer_store_dword v28, off, s[36:39], 0 offset:744 ; 4-byte Folded Spill
	buffer_store_dword v29, off, s[36:39], 0 offset:748 ; 4-byte Folded Spill
	buffer_store_dword v30, off, s[36:39], 0 offset:752 ; 4-byte Folded Spill
	buffer_store_dword v31, off, s[36:39], 0 offset:756 ; 4-byte Folded Spill
	ds_read_b128 v[0:3], v100 offset:32256
	s_waitcnt lgkmcnt(0)
	v_mul_f64 v[6:7], v[2:3], v[30:31]
	v_fma_f64 v[44:45], v[0:1], v[28:29], -v[6:7]
	v_mul_f64 v[0:1], v[0:1], v[30:31]
	v_fma_f64 v[46:47], v[2:3], v[28:29], v[0:1]
	global_load_dwordx4 v[28:31], v[4:5], off offset:864
	s_waitcnt vmcnt(0)
	buffer_store_dword v28, off, s[36:39], 0 offset:760 ; 4-byte Folded Spill
	buffer_store_dword v29, off, s[36:39], 0 offset:764 ; 4-byte Folded Spill
	buffer_store_dword v30, off, s[36:39], 0 offset:768 ; 4-byte Folded Spill
	buffer_store_dword v31, off, s[36:39], 0 offset:772 ; 4-byte Folded Spill
	ds_read_b128 v[0:3], v100 offset:39936
	s_waitcnt lgkmcnt(0)
	v_mul_f64 v[4:5], v[2:3], v[30:31]
	v_fma_f64 v[48:49], v[0:1], v[28:29], -v[4:5]
	v_mul_f64 v[0:1], v[0:1], v[30:31]
	v_fma_f64 v[50:51], v[2:3], v[28:29], v[0:1]
	v_mov_b32_e32 v28, 0x8889
	v_mul_u32_u24_sdwa v0, v125, v28 dst_sel:DWORD dst_unused:UNUSED_PAD src0_sel:WORD_0 src1_sel:DWORD
	v_lshrrev_b32_e32 v139, 21, v0
	v_mul_lo_u16 v0, v139, 60
	v_sub_nc_u16 v140, v125, v0
	v_mul_lo_u16 v0, 0x50, v140
	v_and_b32_e32 v0, 0xffff, v0
	v_add_co_u32 v4, s31, s10, v0
	v_add_co_ci_u32_e64 v5, null, s11, 0, s31
	global_load_dwordx4 v[52:55], v[4:5], off offset:800
	s_waitcnt vmcnt(0)
	buffer_store_dword v52, off, s[36:39], 0 offset:780 ; 4-byte Folded Spill
	buffer_store_dword v53, off, s[36:39], 0 offset:784 ; 4-byte Folded Spill
	buffer_store_dword v54, off, s[36:39], 0 offset:788 ; 4-byte Folded Spill
	buffer_store_dword v55, off, s[36:39], 0 offset:792 ; 4-byte Folded Spill
	ds_read_b128 v[0:3], v100 offset:10752
	s_waitcnt lgkmcnt(0)
	v_mul_f64 v[6:7], v[2:3], v[54:55]
	v_fma_f64 v[56:57], v[0:1], v[52:53], -v[6:7]
	v_mul_f64 v[0:1], v[0:1], v[54:55]
	v_fma_f64 v[58:59], v[2:3], v[52:53], v[0:1]
	global_load_dwordx4 v[52:55], v[4:5], off offset:816
	s_waitcnt vmcnt(0)
	buffer_store_dword v52, off, s[36:39], 0 offset:796 ; 4-byte Folded Spill
	buffer_store_dword v53, off, s[36:39], 0 offset:800 ; 4-byte Folded Spill
	buffer_store_dword v54, off, s[36:39], 0 offset:804 ; 4-byte Folded Spill
	buffer_store_dword v55, off, s[36:39], 0 offset:808 ; 4-byte Folded Spill
	ds_read_b128 v[0:3], v100 offset:18432
	s_waitcnt lgkmcnt(0)
	v_mul_f64 v[6:7], v[2:3], v[54:55]
	v_fma_f64 v[60:61], v[0:1], v[52:53], -v[6:7]
	v_mul_f64 v[0:1], v[0:1], v[54:55]
	v_fma_f64 v[62:63], v[2:3], v[52:53], v[0:1]
	;; [unrolled: 12-line block ×5, first 2 shown]
	v_mul_u32_u24_sdwa v0, v120, v28 dst_sel:DWORD dst_unused:UNUSED_PAD src0_sel:WORD_0 src1_sel:DWORD
	v_lshrrev_b32_e32 v141, 21, v0
	v_mul_lo_u16 v0, v141, 60
	v_sub_nc_u16 v142, v120, v0
	v_mul_lo_u16 v0, 0x50, v142
	v_and_b32_e32 v0, 0xffff, v0
	v_add_co_u32 v4, s31, s10, v0
	v_add_co_ci_u32_e64 v5, null, s11, 0, s31
	global_load_dwordx4 v[28:31], v[4:5], off offset:800
	s_waitcnt vmcnt(0)
	buffer_store_dword v28, off, s[36:39], 0 offset:860 ; 4-byte Folded Spill
	buffer_store_dword v29, off, s[36:39], 0 offset:864 ; 4-byte Folded Spill
	buffer_store_dword v30, off, s[36:39], 0 offset:868 ; 4-byte Folded Spill
	buffer_store_dword v31, off, s[36:39], 0 offset:872 ; 4-byte Folded Spill
	ds_read_b128 v[0:3], v100 offset:12288
	s_waitcnt lgkmcnt(0)
	v_mul_f64 v[6:7], v[2:3], v[30:31]
	v_fma_f64 v[80:81], v[0:1], v[28:29], -v[6:7]
	v_mul_f64 v[0:1], v[0:1], v[30:31]
	v_fma_f64 v[82:83], v[2:3], v[28:29], v[0:1]
	global_load_dwordx4 v[28:31], v[4:5], off offset:816
	s_waitcnt vmcnt(0)
	buffer_store_dword v28, off, s[36:39], 0 offset:876 ; 4-byte Folded Spill
	buffer_store_dword v29, off, s[36:39], 0 offset:880 ; 4-byte Folded Spill
	buffer_store_dword v30, off, s[36:39], 0 offset:884 ; 4-byte Folded Spill
	buffer_store_dword v31, off, s[36:39], 0 offset:888 ; 4-byte Folded Spill
	ds_read_b128 v[0:3], v100 offset:19968
	s_waitcnt lgkmcnt(0)
	v_mul_f64 v[6:7], v[2:3], v[30:31]
	v_fma_f64 v[84:85], v[0:1], v[28:29], -v[6:7]
	v_mul_f64 v[0:1], v[0:1], v[30:31]
	v_fma_f64 v[86:87], v[2:3], v[28:29], v[0:1]
	;; [unrolled: 12-line block ×4, first 2 shown]
	global_load_dwordx4 v[28:31], v[4:5], off offset:864
	s_waitcnt vmcnt(0)
	buffer_store_dword v28, off, s[36:39], 0 offset:924 ; 4-byte Folded Spill
	buffer_store_dword v29, off, s[36:39], 0 offset:928 ; 4-byte Folded Spill
	;; [unrolled: 1-line block ×4, first 2 shown]
	ds_read_b128 v[0:3], v100 offset:43008
	buffer_store_dword v190, off, s[36:39], 0 offset:504 ; 4-byte Folded Spill
	s_waitcnt lgkmcnt(0)
	v_mul_f64 v[4:5], v[2:3], v[30:31]
	v_fma_f64 v[96:97], v[0:1], v[28:29], -v[4:5]
	v_mul_f64 v[0:1], v[0:1], v[30:31]
	v_fma_f64 v[98:99], v[2:3], v[28:29], v[0:1]
	v_mul_u32_u24_e32 v0, 0x8889, v190
	v_lshrrev_b32_e32 v143, 21, v0
	v_mul_lo_u16 v0, v143, 60
	v_sub_nc_u16 v144, v190, v0
	v_mul_lo_u16 v0, 0x50, v144
	v_and_b32_e32 v0, 0xffff, v0
	v_add_co_u32 v4, s31, s10, v0
	v_add_co_ci_u32_e64 v5, null, s11, 0, s31
	global_load_dwordx4 v[28:31], v[4:5], off offset:800
	s_waitcnt vmcnt(0)
	buffer_store_dword v28, off, s[36:39], 0 offset:940 ; 4-byte Folded Spill
	buffer_store_dword v29, off, s[36:39], 0 offset:944 ; 4-byte Folded Spill
	buffer_store_dword v30, off, s[36:39], 0 offset:948 ; 4-byte Folded Spill
	buffer_store_dword v31, off, s[36:39], 0 offset:952 ; 4-byte Folded Spill
	ds_read_b128 v[0:3], v100 offset:13824
	s_waitcnt lgkmcnt(0)
	v_mul_f64 v[6:7], v[2:3], v[30:31]
	v_fma_f64 v[106:107], v[0:1], v[28:29], -v[6:7]
	v_mul_f64 v[0:1], v[0:1], v[30:31]
	v_fma_f64 v[108:109], v[2:3], v[28:29], v[0:1]
	global_load_dwordx4 v[28:31], v[4:5], off offset:816
	s_waitcnt vmcnt(0)
	buffer_store_dword v28, off, s[36:39], 0 offset:956 ; 4-byte Folded Spill
	buffer_store_dword v29, off, s[36:39], 0 offset:960 ; 4-byte Folded Spill
	buffer_store_dword v30, off, s[36:39], 0 offset:964 ; 4-byte Folded Spill
	buffer_store_dword v31, off, s[36:39], 0 offset:968 ; 4-byte Folded Spill
	ds_read_b128 v[0:3], v100 offset:21504
	s_waitcnt lgkmcnt(0)
	v_mul_f64 v[6:7], v[2:3], v[30:31]
	v_fma_f64 v[110:111], v[0:1], v[28:29], -v[6:7]
	v_mul_f64 v[0:1], v[0:1], v[30:31]
	v_fma_f64 v[112:113], v[2:3], v[28:29], v[0:1]
	;; [unrolled: 12-line block ×4, first 2 shown]
	global_load_dwordx4 v[28:31], v[4:5], off offset:864
	s_waitcnt vmcnt(0)
	buffer_store_dword v28, off, s[36:39], 0 offset:1004 ; 4-byte Folded Spill
	buffer_store_dword v29, off, s[36:39], 0 offset:1008 ; 4-byte Folded Spill
	;; [unrolled: 1-line block ×4, first 2 shown]
	ds_read_b128 v[0:3], v100 offset:44544
	s_waitcnt lgkmcnt(0)
	v_mul_f64 v[4:5], v[2:3], v[30:31]
	v_fma_f64 v[125:126], v[0:1], v[28:29], -v[4:5]
	v_mul_f64 v[0:1], v[0:1], v[30:31]
	v_add_f64 v[4:5], v[12:13], v[20:21]
	v_fma_f64 v[127:128], v[2:3], v[28:29], v[0:1]
	ds_read_b128 v[0:3], v100
	s_waitcnt lgkmcnt(0)
	v_fma_f64 v[28:29], v[4:5], -0.5, v[0:1]
	v_add_f64 v[4:5], v[14:15], v[22:23]
	v_add_f64 v[0:1], v[0:1], v[12:13]
	v_fma_f64 v[30:31], v[4:5], -0.5, v[2:3]
	v_add_f64 v[4:5], v[0:1], v[20:21]
	v_add_f64 v[0:1], v[8:9], v[16:17]
	v_add_f64 v[2:3], v[2:3], v[14:15]
	v_add_f64 v[20:21], v[12:13], -v[20:21]
	v_add_f64 v[52:53], v[0:1], v[24:25]
	v_add_f64 v[0:1], v[10:11], v[18:19]
	v_add_f64 v[6:7], v[2:3], v[22:23]
	v_add_f64 v[22:23], v[14:15], -v[22:23]
	v_add_f64 v[54:55], v[0:1], v[26:27]
	v_add_f64 v[0:1], v[4:5], v[52:53]
	v_add_f64 v[4:5], v[4:5], -v[52:53]
	v_add_f64 v[52:53], v[18:19], v[26:27]
	v_add_f64 v[18:19], v[18:19], -v[26:27]
	v_fma_f64 v[26:27], v[22:23], s[6:7], v[28:29]
	v_fma_f64 v[22:23], v[22:23], s[8:9], v[28:29]
	v_add_f64 v[28:29], v[36:37], v[44:45]
	v_add_f64 v[2:3], v[6:7], v[54:55]
	v_add_f64 v[6:7], v[6:7], -v[54:55]
	v_fma_f64 v[54:55], v[20:21], s[8:9], v[30:31]
	v_fma_f64 v[52:53], v[52:53], -0.5, v[10:11]
	v_add_f64 v[10:11], v[16:17], v[24:25]
	v_add_f64 v[16:17], v[16:17], -v[24:25]
	v_fma_f64 v[24:25], v[10:11], -0.5, v[8:9]
	v_fma_f64 v[8:9], v[16:17], s[8:9], v[52:53]
	v_fma_f64 v[16:17], v[16:17], s[6:7], v[52:53]
	v_fma_f64 v[10:11], v[18:19], s[6:7], v[24:25]
	v_fma_f64 v[18:19], v[18:19], s[8:9], v[24:25]
	v_mul_f64 v[12:13], v[8:9], s[6:7]
	v_fma_f64 v[24:25], v[20:21], s[6:7], v[30:31]
	v_mul_f64 v[20:21], v[18:19], -0.5
	v_fma_f64 v[12:13], v[10:11], 0.5, v[12:13]
	v_mul_f64 v[10:11], v[10:11], s[8:9]
	v_fma_f64 v[20:21], v[16:17], s[6:7], v[20:21]
	v_mul_f64 v[16:17], v[16:17], -0.5
	v_fma_f64 v[14:15], v[8:9], 0.5, v[10:11]
	v_add_f64 v[8:9], v[26:27], v[12:13]
	v_add_f64 v[12:13], v[26:27], -v[12:13]
	v_fma_f64 v[26:27], v[18:19], s[8:9], v[16:17]
	v_add_f64 v[16:17], v[22:23], v[20:21]
	v_add_f64 v[20:21], v[22:23], -v[20:21]
	v_add_f64 v[10:11], v[54:55], v[14:15]
	v_add_f64 v[14:15], v[54:55], -v[14:15]
	v_add_f64 v[18:19], v[24:25], v[26:27]
	v_add_f64 v[22:23], v[24:25], -v[26:27]
	ds_read_b128 v[24:27], v100 offset:1536
	s_waitcnt lgkmcnt(0)
	v_fma_f64 v[52:53], v[28:29], -0.5, v[24:25]
	v_add_f64 v[28:29], v[38:39], v[46:47]
	v_add_f64 v[24:25], v[24:25], v[36:37]
	v_fma_f64 v[54:55], v[28:29], -0.5, v[26:27]
	v_add_f64 v[28:29], v[24:25], v[44:45]
	v_add_f64 v[24:25], v[32:33], v[40:41]
	v_add_f64 v[26:27], v[26:27], v[38:39]
	v_add_f64 v[44:45], v[36:37], -v[44:45]
	v_add_f64 v[76:77], v[24:25], v[48:49]
	v_add_f64 v[24:25], v[34:35], v[42:43]
	v_add_f64 v[30:31], v[26:27], v[46:47]
	v_add_f64 v[46:47], v[38:39], -v[46:47]
	v_add_f64 v[78:79], v[24:25], v[50:51]
	v_add_f64 v[24:25], v[28:29], v[76:77]
	v_add_f64 v[28:29], v[28:29], -v[76:77]
	v_add_f64 v[76:77], v[42:43], v[50:51]
	v_add_f64 v[42:43], v[42:43], -v[50:51]
	v_fma_f64 v[50:51], v[46:47], s[6:7], v[52:53]
	v_fma_f64 v[46:47], v[46:47], s[8:9], v[52:53]
	v_add_f64 v[52:53], v[60:61], v[68:69]
	v_add_f64 v[26:27], v[30:31], v[78:79]
	v_add_f64 v[30:31], v[30:31], -v[78:79]
	v_fma_f64 v[78:79], v[44:45], s[8:9], v[54:55]
	v_fma_f64 v[76:77], v[76:77], -0.5, v[34:35]
	v_add_f64 v[34:35], v[40:41], v[48:49]
	v_add_f64 v[40:41], v[40:41], -v[48:49]
	v_fma_f64 v[48:49], v[34:35], -0.5, v[32:33]
	v_fma_f64 v[32:33], v[40:41], s[8:9], v[76:77]
	v_fma_f64 v[40:41], v[40:41], s[6:7], v[76:77]
	v_fma_f64 v[34:35], v[42:43], s[6:7], v[48:49]
	v_fma_f64 v[42:43], v[42:43], s[8:9], v[48:49]
	v_mul_f64 v[36:37], v[32:33], s[6:7]
	v_fma_f64 v[48:49], v[44:45], s[6:7], v[54:55]
	v_mul_f64 v[44:45], v[42:43], -0.5
	v_fma_f64 v[36:37], v[34:35], 0.5, v[36:37]
	v_mul_f64 v[34:35], v[34:35], s[8:9]
	v_fma_f64 v[44:45], v[40:41], s[6:7], v[44:45]
	v_mul_f64 v[40:41], v[40:41], -0.5
	v_fma_f64 v[38:39], v[32:33], 0.5, v[34:35]
	v_add_f64 v[32:33], v[50:51], v[36:37]
	v_add_f64 v[36:37], v[50:51], -v[36:37]
	v_fma_f64 v[50:51], v[42:43], s[8:9], v[40:41]
	v_add_f64 v[40:41], v[46:47], v[44:45]
	v_add_f64 v[44:45], v[46:47], -v[44:45]
	v_add_f64 v[34:35], v[78:79], v[38:39]
	v_add_f64 v[38:39], v[78:79], -v[38:39]
	v_add_f64 v[42:43], v[48:49], v[50:51]
	v_add_f64 v[46:47], v[48:49], -v[50:51]
	ds_read_b128 v[48:51], v100 offset:3072
	;; [unrolled: 50-line block ×4, first 2 shown]
	s_waitcnt lgkmcnt(0)
	v_fma_f64 v[129:130], v[102:103], -0.5, v[96:97]
	v_add_f64 v[102:103], v[112:113], v[121:122]
	v_add_f64 v[96:97], v[96:97], v[110:111]
	v_fma_f64 v[131:132], v[102:103], -0.5, v[98:99]
	v_add_f64 v[102:103], v[96:97], v[118:119]
	v_add_f64 v[96:97], v[106:107], v[114:115]
	;; [unrolled: 1-line block ×3, first 2 shown]
	v_add_f64 v[118:119], v[110:111], -v[118:119]
	v_add_f64 v[133:134], v[96:97], v[125:126]
	v_add_f64 v[96:97], v[108:109], v[116:117]
	;; [unrolled: 1-line block ×3, first 2 shown]
	v_add_f64 v[121:122], v[112:113], -v[121:122]
	v_add_f64 v[135:136], v[96:97], v[127:128]
	v_add_f64 v[96:97], v[102:103], v[133:134]
	v_add_f64 v[102:103], v[102:103], -v[133:134]
	v_add_f64 v[133:134], v[116:117], v[127:128]
	v_add_f64 v[116:117], v[116:117], -v[127:128]
	v_fma_f64 v[127:128], v[121:122], s[6:7], v[129:130]
	v_fma_f64 v[121:122], v[121:122], s[8:9], v[129:130]
	v_add_f64 v[98:99], v[104:105], v[135:136]
	v_add_f64 v[104:105], v[104:105], -v[135:136]
	v_fma_f64 v[135:136], v[118:119], s[8:9], v[131:132]
	v_fma_f64 v[133:134], v[133:134], -0.5, v[108:109]
	v_add_f64 v[108:109], v[114:115], v[125:126]
	v_add_f64 v[114:115], v[114:115], -v[125:126]
	v_fma_f64 v[118:119], v[118:119], s[6:7], v[131:132]
	v_fma_f64 v[125:126], v[108:109], -0.5, v[106:107]
	v_fma_f64 v[106:107], v[114:115], s[8:9], v[133:134]
	v_fma_f64 v[114:115], v[114:115], s[6:7], v[133:134]
	;; [unrolled: 1-line block ×4, first 2 shown]
	v_mul_f64 v[110:111], v[106:107], s[6:7]
	v_mul_f64 v[125:126], v[116:117], -0.5
	v_fma_f64 v[110:111], v[108:109], 0.5, v[110:111]
	v_mul_f64 v[108:109], v[108:109], s[8:9]
	v_fma_f64 v[125:126], v[114:115], s[6:7], v[125:126]
	v_mul_f64 v[114:115], v[114:115], -0.5
	v_fma_f64 v[112:113], v[106:107], 0.5, v[108:109]
	v_add_f64 v[106:107], v[127:128], v[110:111]
	v_add_f64 v[110:111], v[127:128], -v[110:111]
	v_fma_f64 v[127:128], v[116:117], s[8:9], v[114:115]
	v_add_f64 v[108:109], v[135:136], v[112:113]
	v_add_f64 v[114:115], v[121:122], v[125:126]
	v_add_f64 v[112:113], v[135:136], -v[112:113]
	v_add_f64 v[125:126], v[121:122], -v[125:126]
	v_add_f64 v[116:117], v[118:119], v[127:128]
	v_add_f64 v[127:128], v[118:119], -v[127:128]
	v_cndmask_b32_e64 v118, 0, 0x168, vcc_lo
	v_add_lshl_u32 v118, v137, v118, 4
	buffer_store_dword v118, off, s[36:39], 0 offset:612 ; 4-byte Folded Spill
	s_waitcnt_vscnt null, 0x0
	s_barrier
	buffer_gl0_inv
	ds_write_b128 v118, v[0:3]
	ds_write_b128 v118, v[8:11] offset:960
	ds_write_b128 v118, v[16:19] offset:1920
	;; [unrolled: 1-line block ×5, first 2 shown]
	v_mov_b32_e32 v0, 0x168
	v_mul_u32_u24_sdwa v0, v123, v0 dst_sel:DWORD dst_unused:UNUSED_PAD src0_sel:WORD_0 src1_sel:DWORD
	v_add_lshl_u32 v0, v0, v138, 4
	buffer_store_dword v0, off, s[36:39], 0 offset:608 ; 4-byte Folded Spill
	ds_write_b128 v0, v[24:27]
	ds_write_b128 v0, v[32:35] offset:960
	ds_write_b128 v0, v[40:43] offset:1920
	ds_write_b128 v0, v[28:31] offset:2880
	ds_write_b128 v0, v[36:39] offset:3840
	ds_write_b128 v0, v[44:47] offset:4800
	v_mad_u16 v0, 0x168, v139, v140
	v_lshlrev_b32_sdwa v0, v124, v0 dst_sel:DWORD dst_unused:UNUSED_PAD src0_sel:DWORD src1_sel:WORD_0
	buffer_store_dword v0, off, s[36:39], 0 offset:600 ; 4-byte Folded Spill
	ds_write_b128 v0, v[48:51]
	ds_write_b128 v0, v[56:59] offset:960
	ds_write_b128 v0, v[64:67] offset:1920
	ds_write_b128 v0, v[52:55] offset:2880
	ds_write_b128 v0, v[60:63] offset:3840
	ds_write_b128 v0, v[68:71] offset:4800
	v_mad_u16 v0, 0x168, v141, v142
	v_lshlrev_b32_sdwa v0, v124, v0 dst_sel:DWORD dst_unused:UNUSED_PAD src0_sel:DWORD src1_sel:WORD_0
	;; [unrolled: 9-line block ×3, first 2 shown]
	buffer_store_dword v0, off, s[36:39], 0 offset:588 ; 4-byte Folded Spill
	ds_write_b128 v0, v[96:99]
	ds_write_b128 v0, v[106:109] offset:960
	ds_write_b128 v0, v[114:117] offset:1920
	;; [unrolled: 1-line block ×5, first 2 shown]
	v_add_co_u32 v102, s31, s10, v100
	v_add_co_ci_u32_e64 v103, null, s11, 0, s31
	s_waitcnt lgkmcnt(0)
	s_waitcnt_vscnt null, 0x0
	v_add_co_u32 v8, vcc_lo, 0x1000, v102
	v_add_co_ci_u32_e32 v9, vcc_lo, 0, v103, vcc_lo
	s_barrier
	buffer_gl0_inv
	global_load_dwordx4 v[10:13], v[8:9], off offset:1504
	s_waitcnt vmcnt(0)
	buffer_store_dword v10, off, s[36:39], 0 offset:540 ; 4-byte Folded Spill
	buffer_store_dword v11, off, s[36:39], 0 offset:544 ; 4-byte Folded Spill
	;; [unrolled: 1-line block ×4, first 2 shown]
	ds_read_b128 v[2:5], v100 offset:23040
	s_waitcnt lgkmcnt(0)
	v_mul_f64 v[0:1], v[4:5], v[12:13]
	v_fma_f64 v[0:1], v[2:3], v[10:11], -v[0:1]
	v_mul_f64 v[2:3], v[2:3], v[12:13]
	v_fma_f64 v[2:3], v[4:5], v[10:11], v[2:3]
	v_add_co_u32 v10, vcc_lo, 0x1800, v102
	v_add_co_ci_u32_e32 v11, vcc_lo, 0, v103, vcc_lo
	global_load_dwordx4 v[16:19], v[10:11], off offset:992
	s_waitcnt vmcnt(0)
	buffer_store_dword v16, off, s[36:39], 0 offset:556 ; 4-byte Folded Spill
	buffer_store_dword v17, off, s[36:39], 0 offset:560 ; 4-byte Folded Spill
	;; [unrolled: 1-line block ×4, first 2 shown]
	ds_read_b128 v[12:15], v100 offset:24576
	s_waitcnt lgkmcnt(0)
	v_mul_f64 v[4:5], v[14:15], v[18:19]
	v_mul_f64 v[6:7], v[12:13], v[18:19]
	v_fma_f64 v[4:5], v[12:13], v[16:17], -v[4:5]
	v_fma_f64 v[6:7], v[14:15], v[16:17], v[6:7]
	v_add_co_u32 v16, vcc_lo, 0x2000, v102
	v_add_co_ci_u32_e32 v17, vcc_lo, 0, v103, vcc_lo
	v_cmp_gt_u16_e32 vcc_lo, 0x48, v101
	global_load_dwordx4 v[22:25], v[16:17], off offset:480
	s_waitcnt vmcnt(0)
	buffer_store_dword v22, off, s[36:39], 0 offset:572 ; 4-byte Folded Spill
	buffer_store_dword v23, off, s[36:39], 0 offset:576 ; 4-byte Folded Spill
	;; [unrolled: 1-line block ×4, first 2 shown]
	ds_read_b128 v[18:21], v100 offset:26112
	s_waitcnt lgkmcnt(0)
	v_mul_f64 v[12:13], v[20:21], v[24:25]
	v_mul_f64 v[14:15], v[18:19], v[24:25]
	v_fma_f64 v[12:13], v[18:19], v[22:23], -v[12:13]
	v_add_co_u32 v18, s31, 0xffffffb8, v192
	v_add_co_ci_u32_e64 v19, null, 0, -1, s31
	v_fma_f64 v[14:15], v[20:21], v[22:23], v[14:15]
	v_cndmask_b32_e32 v112, v18, v120, vcc_lo
	v_add_co_ci_u32_e64 v18, null, 0, 0, s30
	v_add_co_u32 v121, s30, 0x2a0, v192
	v_cndmask_b32_e32 v113, v19, v18, vcc_lo
	v_lshlrev_b64 v[18:19], 4, v[112:113]
	v_add_co_u32 v18, vcc_lo, s10, v18
	v_add_co_ci_u32_e32 v19, vcc_lo, s11, v19, vcc_lo
	v_add_co_u32 v18, vcc_lo, 0x1000, v18
	v_add_co_ci_u32_e32 v19, vcc_lo, 0, v19, vcc_lo
	global_load_dwordx4 v[26:29], v[18:19], off offset:1504
	s_waitcnt vmcnt(0)
	buffer_store_dword v26, off, s[36:39], 0 offset:1436 ; 4-byte Folded Spill
	buffer_store_dword v27, off, s[36:39], 0 offset:1440 ; 4-byte Folded Spill
	;; [unrolled: 1-line block ×4, first 2 shown]
	ds_read_b128 v[18:21], v100 offset:27648
	s_waitcnt lgkmcnt(0)
	v_mul_f64 v[22:23], v[20:21], v[28:29]
	v_fma_f64 v[24:25], v[18:19], v[26:27], -v[22:23]
	v_mul_f64 v[18:19], v[18:19], v[28:29]
	global_load_dwordx4 v[28:31], v[8:9], off offset:1888
	s_waitcnt vmcnt(0)
	buffer_store_dword v28, off, s[36:39], 0 offset:1600 ; 4-byte Folded Spill
	buffer_store_dword v29, off, s[36:39], 0 offset:1604 ; 4-byte Folded Spill
	;; [unrolled: 1-line block ×4, first 2 shown]
	v_fma_f64 v[26:27], v[20:21], v[26:27], v[18:19]
	ds_read_b128 v[18:21], v100 offset:29184
	s_waitcnt lgkmcnt(0)
	v_mul_f64 v[8:9], v[20:21], v[30:31]
	v_fma_f64 v[40:41], v[18:19], v[28:29], -v[8:9]
	v_mul_f64 v[8:9], v[18:19], v[30:31]
	v_fma_f64 v[42:43], v[20:21], v[28:29], v[8:9]
	global_load_dwordx4 v[20:23], v[10:11], off offset:1376
	s_waitcnt vmcnt(0)
	buffer_store_dword v20, off, s[36:39], 0 offset:1616 ; 4-byte Folded Spill
	buffer_store_dword v21, off, s[36:39], 0 offset:1620 ; 4-byte Folded Spill
	;; [unrolled: 1-line block ×4, first 2 shown]
	ds_read_b128 v[8:11], v100 offset:30720
	s_waitcnt lgkmcnt(0)
	v_mul_f64 v[18:19], v[10:11], v[22:23]
	v_fma_f64 v[48:49], v[8:9], v[20:21], -v[18:19]
	v_mul_f64 v[8:9], v[8:9], v[22:23]
	v_fma_f64 v[50:51], v[10:11], v[20:21], v[8:9]
	global_load_dwordx4 v[18:21], v[16:17], off offset:864
	s_waitcnt vmcnt(0)
	buffer_store_dword v18, off, s[36:39], 0 offset:1632 ; 4-byte Folded Spill
	buffer_store_dword v19, off, s[36:39], 0 offset:1636 ; 4-byte Folded Spill
	;; [unrolled: 1-line block ×4, first 2 shown]
	ds_read_b128 v[8:11], v100 offset:32256
	s_waitcnt lgkmcnt(0)
	v_mul_f64 v[16:17], v[10:11], v[20:21]
	v_fma_f64 v[56:57], v[8:9], v[18:19], -v[16:17]
	v_mul_f64 v[8:9], v[8:9], v[20:21]
	v_fma_f64 v[58:59], v[10:11], v[18:19], v[8:9]
	v_mov_b32_e32 v18, 0x2d83
	v_mul_u32_u24_sdwa v8, v121, v18 dst_sel:DWORD dst_unused:UNUSED_PAD src0_sel:WORD_0 src1_sel:DWORD
	v_lshrrev_b32_e32 v122, 22, v8
	v_mul_lo_u16 v8, 0x168, v122
	v_sub_nc_u16 v123, v121, v8
	v_lshlrev_b32_sdwa v8, v124, v123 dst_sel:DWORD dst_unused:UNUSED_PAD src0_sel:DWORD src1_sel:WORD_0
	v_add_co_u32 v8, s31, s10, v8
	v_add_co_ci_u32_e64 v9, null, s11, 0, s31
	v_add_co_u32 v8, vcc_lo, 0x1000, v8
	v_add_co_ci_u32_e32 v9, vcc_lo, 0, v9, vcc_lo
	global_load_dwordx4 v[19:22], v[8:9], off offset:1504
	s_waitcnt vmcnt(0)
	buffer_store_dword v19, off, s[36:39], 0 offset:1648 ; 4-byte Folded Spill
	buffer_store_dword v20, off, s[36:39], 0 offset:1652 ; 4-byte Folded Spill
	;; [unrolled: 1-line block ×4, first 2 shown]
	ds_read_b128 v[8:11], v100 offset:33792
	buffer_store_dword v193, off, s[36:39], 0 offset:508 ; 4-byte Folded Spill
	s_waitcnt lgkmcnt(0)
	v_mul_f64 v[16:17], v[10:11], v[21:22]
	v_fma_f64 v[64:65], v[8:9], v[19:20], -v[16:17]
	v_mul_f64 v[8:9], v[8:9], v[21:22]
	v_fma_f64 v[66:67], v[10:11], v[19:20], v[8:9]
	v_mul_u32_u24_e32 v8, 0x2d83, v193
	v_lshrrev_b32_e32 v8, 22, v8
	v_mul_lo_u16 v8, 0x168, v8
	v_sub_nc_u16 v8, v193, v8
	v_lshlrev_b32_sdwa v131, v124, v8 dst_sel:DWORD dst_unused:UNUSED_PAD src0_sel:DWORD src1_sel:WORD_0
	v_add_co_u32 v8, s31, s10, v131
	v_add_co_ci_u32_e64 v9, null, s11, 0, s31
	v_add_co_u32 v8, vcc_lo, 0x1000, v8
	v_add_co_ci_u32_e32 v9, vcc_lo, 0, v9, vcc_lo
	global_load_dwordx4 v[19:22], v[8:9], off offset:1504
	s_waitcnt vmcnt(0)
	buffer_store_dword v19, off, s[36:39], 0 offset:1664 ; 4-byte Folded Spill
	buffer_store_dword v20, off, s[36:39], 0 offset:1668 ; 4-byte Folded Spill
	;; [unrolled: 1-line block ×4, first 2 shown]
	ds_read_b128 v[8:11], v100 offset:35328
	ds_read_b128 v[28:31], v100 offset:3072
	ds_read_b128 v[36:39], v100 offset:6144
	ds_read_b128 v[44:47], v100 offset:7680
	ds_read_b128 v[52:55], v100 offset:9216
	ds_read_b128 v[60:63], v100 offset:10752
	ds_read_b128 v[68:71], v100 offset:12288
	ds_read_b128 v[76:79], v100 offset:13824
	ds_read_b128 v[84:87], v100 offset:15360
	ds_read_b128 v[92:95], v100 offset:16896
	ds_read_b128 v[104:107], v100 offset:18432
	ds_read_b128 v[127:130], v100 offset:21504
	buffer_store_dword v191, off, s[36:39], 0 offset:512 ; 4-byte Folded Spill
	buffer_store_dword v192, off, s[36:39], 0 offset:536 ; 4-byte Folded Spill
	s_waitcnt lgkmcnt(11)
	v_mul_f64 v[16:17], v[10:11], v[21:22]
	v_fma_f64 v[72:73], v[8:9], v[19:20], -v[16:17]
	v_mul_f64 v[8:9], v[8:9], v[21:22]
	v_fma_f64 v[74:75], v[10:11], v[19:20], v[8:9]
	v_add_nc_u32_e32 v8, 0x360, v192
	v_mul_u32_u24_sdwa v9, v8, v18 dst_sel:DWORD dst_unused:UNUSED_PAD src0_sel:WORD_0 src1_sel:DWORD
	v_lshrrev_b32_e32 v9, 22, v9
	v_mul_lo_u16 v9, 0x168, v9
	v_sub_nc_u16 v8, v8, v9
	v_lshlrev_b32_sdwa v132, v124, v8 dst_sel:DWORD dst_unused:UNUSED_PAD src0_sel:DWORD src1_sel:WORD_0
	v_add_co_u32 v8, s31, s10, v132
	v_add_co_ci_u32_e64 v9, null, s11, 0, s31
	v_add_co_u32 v8, vcc_lo, 0x1000, v8
	v_add_co_ci_u32_e32 v9, vcc_lo, 0, v9, vcc_lo
	global_load_dwordx4 v[247:250], v[8:9], off offset:1504
	ds_read_b128 v[8:11], v100 offset:36864
	s_waitcnt vmcnt(0) lgkmcnt(0)
	v_mul_f64 v[16:17], v[10:11], v[249:250]
	v_fma_f64 v[80:81], v[8:9], v[247:248], -v[16:17]
	v_mul_f64 v[8:9], v[8:9], v[249:250]
	v_fma_f64 v[82:83], v[10:11], v[247:248], v[8:9]
	v_add_nc_u32_e32 v8, 0x3c0, v192
	v_mul_u32_u24_sdwa v9, v8, v18 dst_sel:DWORD dst_unused:UNUSED_PAD src0_sel:WORD_0 src1_sel:DWORD
	v_lshrrev_b32_e32 v9, 22, v9
	v_mul_lo_u16 v9, 0x168, v9
	v_sub_nc_u16 v8, v8, v9
	v_lshlrev_b32_sdwa v133, v124, v8 dst_sel:DWORD dst_unused:UNUSED_PAD src0_sel:DWORD src1_sel:WORD_0
	v_add_co_u32 v8, s31, s10, v133
	v_add_co_ci_u32_e64 v9, null, s11, 0, s31
	v_add_co_u32 v8, vcc_lo, 0x1000, v8
	v_add_co_ci_u32_e32 v9, vcc_lo, 0, v9, vcc_lo
	global_load_dwordx4 v[243:246], v[8:9], off offset:1504
	ds_read_b128 v[8:11], v100 offset:38400
	s_waitcnt vmcnt(0) lgkmcnt(0)
	v_mul_f64 v[16:17], v[10:11], v[245:246]
	v_fma_f64 v[88:89], v[8:9], v[243:244], -v[16:17]
	v_mul_f64 v[8:9], v[8:9], v[245:246]
	v_fma_f64 v[90:91], v[10:11], v[243:244], v[8:9]
	v_add_co_u32 v8, null, 0x420, v192
	v_mul_u32_u24_sdwa v9, v8, v18 dst_sel:DWORD dst_unused:UNUSED_PAD src0_sel:WORD_0 src1_sel:DWORD
	v_lshrrev_b32_e32 v125, 22, v9
	v_mul_lo_u16 v9, 0x168, v125
	v_sub_nc_u16 v126, v8, v9
	v_lshlrev_b32_sdwa v8, v124, v126 dst_sel:DWORD dst_unused:UNUSED_PAD src0_sel:DWORD src1_sel:WORD_0
	v_add_co_u32 v8, s31, s10, v8
	v_add_co_ci_u32_e64 v9, null, s11, 0, s31
	v_add_co_u32 v8, vcc_lo, 0x1000, v8
	v_add_co_ci_u32_e32 v9, vcc_lo, 0, v9, vcc_lo
	global_load_dwordx4 v[239:242], v[8:9], off offset:1504
	ds_read_b128 v[8:11], v100 offset:39936
	s_waitcnt vmcnt(0) lgkmcnt(0)
	v_mul_f64 v[16:17], v[10:11], v[241:242]
	v_fma_f64 v[96:97], v[8:9], v[239:240], -v[16:17]
	v_mul_f64 v[8:9], v[8:9], v[241:242]
	v_fma_f64 v[98:99], v[10:11], v[239:240], v[8:9]
	v_mul_u32_u24_e32 v8, 0x2d83, v191
	v_lshrrev_b32_e32 v8, 22, v8
	v_mul_lo_u16 v8, 0x168, v8
	v_sub_nc_u16 v8, v191, v8
	v_lshlrev_b32_sdwa v134, v124, v8 dst_sel:DWORD dst_unused:UNUSED_PAD src0_sel:DWORD src1_sel:WORD_0
	v_add_co_u32 v8, s31, s10, v134
	v_add_co_ci_u32_e64 v9, null, s11, 0, s31
	v_add_co_u32 v8, vcc_lo, 0x1000, v8
	v_add_co_ci_u32_e32 v9, vcc_lo, 0, v9, vcc_lo
	global_load_dwordx4 v[235:238], v[8:9], off offset:1504
	ds_read_b128 v[8:11], v100 offset:41472
	s_waitcnt vmcnt(0) lgkmcnt(0)
	v_mul_f64 v[16:17], v[10:11], v[237:238]
	v_fma_f64 v[108:109], v[8:9], v[235:236], -v[16:17]
	v_mul_f64 v[8:9], v[8:9], v[237:238]
	v_fma_f64 v[110:111], v[10:11], v[235:236], v[8:9]
	v_add_nc_u32_e32 v8, 0x4e0, v192
	v_mul_u32_u24_sdwa v9, v8, v18 dst_sel:DWORD dst_unused:UNUSED_PAD src0_sel:WORD_0 src1_sel:DWORD
	v_lshrrev_b32_e32 v9, 22, v9
	v_mul_lo_u16 v9, 0x168, v9
	v_sub_nc_u16 v8, v8, v9
	v_lshlrev_b32_sdwa v135, v124, v8 dst_sel:DWORD dst_unused:UNUSED_PAD src0_sel:DWORD src1_sel:WORD_0
	v_add_co_u32 v8, s31, s10, v135
	v_add_co_ci_u32_e64 v9, null, s11, 0, s31
	v_add_co_u32 v8, vcc_lo, 0x1000, v8
	v_add_co_ci_u32_e32 v9, vcc_lo, 0, v9, vcc_lo
	global_load_dwordx4 v[231:234], v[8:9], off offset:1504
	ds_read_b128 v[8:11], v100 offset:43008
	s_waitcnt vmcnt(0) lgkmcnt(0)
	v_mul_f64 v[16:17], v[10:11], v[233:234]
	v_fma_f64 v[117:118], v[8:9], v[231:232], -v[16:17]
	v_mul_f64 v[8:9], v[8:9], v[233:234]
	v_fma_f64 v[119:120], v[10:11], v[231:232], v[8:9]
	v_add_nc_u32_e32 v8, 0x540, v192
	v_mul_u32_u24_sdwa v9, v8, v18 dst_sel:DWORD dst_unused:UNUSED_PAD src0_sel:WORD_0 src1_sel:DWORD
	v_lshrrev_b32_e32 v9, 22, v9
	v_mul_lo_u16 v9, 0x168, v9
	v_sub_nc_u16 v8, v8, v9
	v_lshlrev_b32_sdwa v136, v124, v8 dst_sel:DWORD dst_unused:UNUSED_PAD src0_sel:DWORD src1_sel:WORD_0
	v_add_co_u32 v8, s31, s10, v136
	v_add_co_ci_u32_e64 v9, null, s11, 0, s31
	v_add_co_u32 v8, vcc_lo, 0x1000, v8
	v_add_co_ci_u32_e32 v9, vcc_lo, 0, v9, vcc_lo
	v_cmp_lt_u16_e32 vcc_lo, 0x47, v101
	global_load_dwordx4 v[227:230], v[8:9], off offset:1504
	ds_read_b128 v[8:11], v100 offset:44544
	s_waitcnt vmcnt(0) lgkmcnt(0)
	v_mul_f64 v[16:17], v[10:11], v[229:230]
	v_fma_f64 v[113:114], v[8:9], v[227:228], -v[16:17]
	ds_read_b128 v[16:19], v100 offset:1536
	v_mul_f64 v[8:9], v[8:9], v[229:230]
	s_waitcnt lgkmcnt(0)
	v_add_f64 v[4:5], v[16:17], -v[4:5]
	v_add_f64 v[6:7], v[18:19], -v[6:7]
	;; [unrolled: 1-line block ×3, first 2 shown]
	v_fma_f64 v[115:116], v[10:11], v[227:228], v[8:9]
	ds_read_b128 v[8:11], v100
	v_fma_f64 v[20:21], v[16:17], 2.0, -v[4:5]
	v_fma_f64 v[22:23], v[18:19], 2.0, -v[6:7]
	v_add_f64 v[16:17], v[28:29], -v[12:13]
	v_add_f64 v[18:19], v[30:31], -v[14:15]
	s_waitcnt lgkmcnt(0)
	v_add_f64 v[0:1], v[8:9], -v[0:1]
	v_add_f64 v[2:3], v[10:11], -v[2:3]
	;; [unrolled: 1-line block ×3, first 2 shown]
	v_fma_f64 v[127:128], v[127:128], 2.0, -v[113:114]
	v_fma_f64 v[32:33], v[28:29], 2.0, -v[16:17]
	;; [unrolled: 1-line block ×3, first 2 shown]
	ds_read_b128 v[28:31], v100 offset:4608
	v_fma_f64 v[8:9], v[8:9], 2.0, -v[0:1]
	v_fma_f64 v[10:11], v[10:11], 2.0, -v[2:3]
	v_fma_f64 v[129:130], v[129:130], 2.0, -v[115:116]
	s_waitcnt lgkmcnt(0)
	v_add_f64 v[12:13], v[28:29], -v[24:25]
	v_add_f64 v[14:15], v[30:31], -v[26:27]
	;; [unrolled: 1-line block ×4, first 2 shown]
	v_fma_f64 v[28:29], v[28:29], 2.0, -v[12:13]
	v_fma_f64 v[30:31], v[30:31], 2.0, -v[14:15]
	;; [unrolled: 1-line block ×4, first 2 shown]
	v_add_f64 v[36:37], v[44:45], -v[48:49]
	v_add_f64 v[38:39], v[46:47], -v[50:51]
	v_fma_f64 v[48:49], v[44:45], 2.0, -v[36:37]
	v_fma_f64 v[50:51], v[46:47], 2.0, -v[38:39]
	v_add_f64 v[44:45], v[52:53], -v[56:57]
	v_add_f64 v[46:47], v[54:55], -v[58:59]
	v_fma_f64 v[56:57], v[52:53], 2.0, -v[44:45]
	v_fma_f64 v[58:59], v[54:55], 2.0, -v[46:47]
	;; [unrolled: 4-line block ×7, first 2 shown]
	v_add_f64 v[92:93], v[104:105], -v[108:109]
	v_add_f64 v[94:95], v[106:107], -v[110:111]
	ds_read_b128 v[108:111], v100 offset:19968
	s_waitcnt lgkmcnt(0)
	s_waitcnt_vscnt null, 0x0
	s_barrier
	buffer_gl0_inv
	ds_write_b128 v100, v[8:11]
	ds_write_b128 v100, v[0:3] offset:5760
	ds_write_b128 v100, v[20:23] offset:1536
	;; [unrolled: 1-line block ×5, first 2 shown]
	v_cndmask_b32_e64 v0, 0, 0x2d0, vcc_lo
	v_add_lshl_u32 v0, v112, v0, 4
	buffer_store_dword v0, off, s[36:39], 0 offset:1596 ; 4-byte Folded Spill
	ds_write_b128 v0, v[28:31]
	ds_write_b128 v0, v[12:15] offset:5760
	ds_write_b128 v100, v[40:43] offset:11904
	;; [unrolled: 1-line block ×7, first 2 shown]
	v_mad_u16 v0, 0x2d0, v122, v123
	v_add_co_u32 v28, vcc_lo, 0x2800, v102
	v_add_f64 v[117:118], v[108:109], -v[117:118]
	v_add_f64 v[119:120], v[110:111], -v[119:120]
	v_fma_f64 v[104:105], v[104:105], 2.0, -v[92:93]
	v_fma_f64 v[106:107], v[106:107], 2.0, -v[94:95]
	v_lshlrev_b32_sdwa v0, v124, v0 dst_sel:DWORD dst_unused:UNUSED_PAD src0_sel:DWORD src1_sel:WORD_0
	v_add_co_ci_u32_e32 v29, vcc_lo, 0, v103, vcc_lo
	v_add_co_u32 v30, vcc_lo, 0x3000, v102
	buffer_store_dword v0, off, s[36:39], 0 offset:1592 ; 4-byte Folded Spill
	ds_write_b128 v0, v[64:67]
	ds_write_b128 v0, v[52:55] offset:5760
	v_mad_u16 v0, 0x2d0, v125, v126
	buffer_store_dword v131, off, s[36:39], 0 offset:1588 ; 4-byte Folded Spill
	ds_write_b128 v131, v[72:75] offset:23040
	ds_write_b128 v131, v[60:63] offset:28800
	buffer_store_dword v132, off, s[36:39], 0 offset:1584 ; 4-byte Folded Spill
	ds_write_b128 v132, v[80:83] offset:23040
	ds_write_b128 v132, v[68:71] offset:28800
	v_lshlrev_b32_sdwa v0, v124, v0 dst_sel:DWORD dst_unused:UNUSED_PAD src0_sel:DWORD src1_sel:WORD_0
	buffer_store_dword v133, off, s[36:39], 0 offset:1580 ; 4-byte Folded Spill
	ds_write_b128 v133, v[88:91] offset:23040
	ds_write_b128 v133, v[76:79] offset:28800
	v_add_co_ci_u32_e32 v31, vcc_lo, 0, v103, vcc_lo
	buffer_store_dword v0, off, s[36:39], 0 offset:1576 ; 4-byte Folded Spill
	v_fma_f64 v[108:109], v[108:109], 2.0, -v[117:118]
	v_fma_f64 v[110:111], v[110:111], 2.0, -v[119:120]
	ds_write_b128 v0, v[96:99]
	ds_write_b128 v0, v[84:87] offset:5760
	buffer_store_dword v134, off, s[36:39], 0 offset:1572 ; 4-byte Folded Spill
	ds_write_b128 v134, v[104:107] offset:34560
	ds_write_b128 v134, v[92:95] offset:40320
	buffer_store_dword v135, off, s[36:39], 0 offset:1568 ; 4-byte Folded Spill
	ds_write_b128 v135, v[108:111] offset:34560
	;; [unrolled: 3-line block ×3, first 2 shown]
	ds_write_b128 v136, v[113:116] offset:40320
	s_waitcnt lgkmcnt(0)
	s_waitcnt_vscnt null, 0x0
	s_barrier
	buffer_gl0_inv
	global_load_dwordx4 v[6:9], v[28:29], off offset:1120
	s_waitcnt vmcnt(0)
	buffer_store_dword v6, off, s[36:39], 0 offset:1452 ; 4-byte Folded Spill
	buffer_store_dword v7, off, s[36:39], 0 offset:1456 ; 4-byte Folded Spill
	;; [unrolled: 1-line block ×4, first 2 shown]
	global_load_dwordx4 v[10:13], v[30:31], off offset:608
	v_add_co_u32 v32, vcc_lo, 0x3800, v102
	v_add_co_ci_u32_e32 v33, vcc_lo, 0, v103, vcc_lo
	ds_read_b128 v[2:5], v100 offset:23040
	s_waitcnt vmcnt(0)
	buffer_store_dword v10, off, s[36:39], 0 offset:1468 ; 4-byte Folded Spill
	buffer_store_dword v11, off, s[36:39], 0 offset:1472 ; 4-byte Folded Spill
	;; [unrolled: 1-line block ×4, first 2 shown]
	global_load_dwordx4 v[14:17], v[32:33], off offset:96
	s_waitcnt lgkmcnt(0)
	v_mul_f64 v[0:1], v[4:5], v[8:9]
	v_add_co_u32 v34, vcc_lo, 0x4000, v102
	v_add_co_ci_u32_e32 v35, vcc_lo, 0, v103, vcc_lo
	v_add_co_u32 v36, vcc_lo, 0x4800, v102
	v_add_co_ci_u32_e32 v37, vcc_lo, 0, v103, vcc_lo
	v_fma_f64 v[0:1], v[2:3], v[6:7], -v[0:1]
	v_mul_f64 v[2:3], v[2:3], v[8:9]
	v_fma_f64 v[2:3], v[4:5], v[6:7], v[2:3]
	ds_read_b128 v[6:9], v100 offset:24576
	s_waitcnt vmcnt(0)
	buffer_store_dword v14, off, s[36:39], 0 offset:1484 ; 4-byte Folded Spill
	buffer_store_dword v15, off, s[36:39], 0 offset:1488 ; 4-byte Folded Spill
	buffer_store_dword v16, off, s[36:39], 0 offset:1492 ; 4-byte Folded Spill
	buffer_store_dword v17, off, s[36:39], 0 offset:1496 ; 4-byte Folded Spill
	global_load_dwordx4 v[18:21], v[32:33], off offset:1632
	s_waitcnt lgkmcnt(0)
	v_mul_f64 v[4:5], v[8:9], v[12:13]
	v_fma_f64 v[4:5], v[6:7], v[10:11], -v[4:5]
	v_mul_f64 v[6:7], v[6:7], v[12:13]
	v_fma_f64 v[6:7], v[8:9], v[10:11], v[6:7]
	ds_read_b128 v[10:13], v100 offset:26112
	s_waitcnt vmcnt(0)
	buffer_store_dword v18, off, s[36:39], 0 offset:1500 ; 4-byte Folded Spill
	buffer_store_dword v19, off, s[36:39], 0 offset:1504 ; 4-byte Folded Spill
	buffer_store_dword v20, off, s[36:39], 0 offset:1508 ; 4-byte Folded Spill
	buffer_store_dword v21, off, s[36:39], 0 offset:1512 ; 4-byte Folded Spill
	global_load_dwordx4 v[22:25], v[34:35], off offset:1120
	s_waitcnt lgkmcnt(0)
	v_mul_f64 v[8:9], v[12:13], v[16:17]
	;; [unrolled: 12-line block ×3, first 2 shown]
	v_fma_f64 v[12:13], v[14:15], v[18:19], -v[12:13]
	v_mul_f64 v[14:15], v[14:15], v[20:21]
	v_fma_f64 v[14:15], v[16:17], v[18:19], v[14:15]
	ds_read_b128 v[18:21], v100 offset:29184
	s_waitcnt vmcnt(0)
	buffer_store_dword v38, off, s[36:39], 0 offset:1536 ; 4-byte Folded Spill
	buffer_store_dword v39, off, s[36:39], 0 offset:1540 ; 4-byte Folded Spill
	;; [unrolled: 1-line block ×4, first 2 shown]
	s_waitcnt lgkmcnt(0)
	v_mul_f64 v[16:17], v[20:21], v[24:25]
	v_fma_f64 v[16:17], v[18:19], v[22:23], -v[16:17]
	v_mul_f64 v[18:19], v[18:19], v[24:25]
	v_fma_f64 v[18:19], v[20:21], v[22:23], v[18:19]
	ds_read_b128 v[22:25], v100 offset:30720
	s_waitcnt lgkmcnt(0)
	v_mul_f64 v[20:21], v[24:25], v[40:41]
	v_fma_f64 v[20:21], v[22:23], v[38:39], -v[20:21]
	v_mul_f64 v[22:23], v[22:23], v[40:41]
	v_fma_f64 v[22:23], v[24:25], v[38:39], v[22:23]
	v_add_co_u32 v38, vcc_lo, 0x5000, v102
	v_add_co_ci_u32_e32 v39, vcc_lo, 0, v103, vcc_lo
	v_cmp_gt_u16_e32 vcc_lo, 48, v101
	global_load_dwordx4 v[44:47], v[38:39], off offset:96
	s_waitcnt vmcnt(0)
	buffer_store_dword v44, off, s[36:39], 0 offset:1552 ; 4-byte Folded Spill
	buffer_store_dword v45, off, s[36:39], 0 offset:1556 ; 4-byte Folded Spill
	buffer_store_dword v46, off, s[36:39], 0 offset:1560 ; 4-byte Folded Spill
	buffer_store_dword v47, off, s[36:39], 0 offset:1564 ; 4-byte Folded Spill
	ds_read_b128 v[40:43], v100 offset:32256
	ds_read_b128 v[147:150], v100 offset:21504
	s_clause 0x6
	global_load_dwordx4 v[171:174], v[28:29], off offset:1888
	global_load_dwordx4 v[167:170], v[30:31], off offset:1376
	;; [unrolled: 1-line block ×7, first 2 shown]
	s_waitcnt lgkmcnt(1)
	v_mul_f64 v[24:25], v[42:43], v[46:47]
	v_mul_f64 v[26:27], v[40:41], v[46:47]
	v_fma_f64 v[24:25], v[40:41], v[44:45], -v[24:25]
	v_add_co_u32 v40, s31, 0xffffffd0, v192
	v_add_co_ci_u32_e64 v41, null, 0, -1, s31
	v_fma_f64 v[26:27], v[42:43], v[44:45], v[26:27]
	v_cndmask_b32_e32 v108, v40, v121, vcc_lo
	v_add_co_ci_u32_e64 v40, null, 0, 0, s30
	v_cndmask_b32_e32 v109, v41, v40, vcc_lo
	v_lshlrev_b64 v[40:41], 4, v[108:109]
	v_add_co_u32 v40, vcc_lo, s10, v40
	v_add_co_ci_u32_e32 v41, vcc_lo, s11, v41, vcc_lo
	v_add_co_u32 v40, vcc_lo, 0x2800, v40
	v_add_co_ci_u32_e32 v41, vcc_lo, 0, v41, vcc_lo
	v_cmp_lt_u16_e32 vcc_lo, 47, v101
	global_load_dwordx4 v[223:226], v[40:41], off offset:1120
	ds_read_b128 v[40:43], v100 offset:33792
	s_waitcnt vmcnt(0) lgkmcnt(0)
	v_mul_f64 v[44:45], v[42:43], v[225:226]
	v_fma_f64 v[44:45], v[40:41], v[223:224], -v[44:45]
	v_mul_f64 v[40:41], v[40:41], v[225:226]
	v_fma_f64 v[46:47], v[42:43], v[223:224], v[40:41]
	ds_read_b128 v[40:43], v100 offset:35328
	s_waitcnt lgkmcnt(0)
	v_mul_f64 v[28:29], v[42:43], v[173:174]
	v_fma_f64 v[48:49], v[40:41], v[171:172], -v[28:29]
	v_mul_f64 v[28:29], v[40:41], v[173:174]
	v_fma_f64 v[40:41], v[42:43], v[171:172], v[28:29]
	ds_read_b128 v[28:31], v100 offset:36864
	s_waitcnt lgkmcnt(0)
	;; [unrolled: 6-line block ×7, first 2 shown]
	v_mul_f64 v[34:35], v[30:31], v[139:140]
	v_fma_f64 v[133:134], v[28:29], v[137:138], -v[34:35]
	v_mul_f64 v[28:29], v[28:29], v[139:140]
	v_add_f64 v[151:152], v[147:148], -v[133:134]
	v_fma_f64 v[135:136], v[30:31], v[137:138], v[28:29]
	ds_read_b128 v[28:31], v100
	s_waitcnt lgkmcnt(0)
	v_add_f64 v[109:110], v[28:29], -v[0:1]
	v_add_f64 v[111:112], v[30:31], -v[2:3]
	ds_read_b128 v[0:3], v100 offset:1536
	v_add_f64 v[153:154], v[149:150], -v[135:136]
	v_fma_f64 v[147:148], v[147:148], 2.0, -v[151:152]
	s_waitcnt lgkmcnt(0)
	v_add_f64 v[92:93], v[0:1], -v[4:5]
	v_add_f64 v[94:95], v[2:3], -v[6:7]
	v_fma_f64 v[113:114], v[28:29], 2.0, -v[109:110]
	v_fma_f64 v[115:116], v[30:31], 2.0, -v[111:112]
	;; [unrolled: 1-line block ×5, first 2 shown]
	ds_read_b128 v[0:3], v100 offset:3072
	s_waitcnt lgkmcnt(0)
	v_add_f64 v[84:85], v[0:1], -v[8:9]
	v_add_f64 v[86:87], v[2:3], -v[10:11]
	ds_read_b128 v[8:11], v100 offset:19968
	v_fma_f64 v[96:97], v[0:1], 2.0, -v[84:85]
	v_fma_f64 v[98:99], v[2:3], 2.0, -v[86:87]
	ds_read_b128 v[0:3], v100 offset:4608
	s_waitcnt lgkmcnt(0)
	v_add_f64 v[76:77], v[0:1], -v[12:13]
	v_add_f64 v[78:79], v[2:3], -v[14:15]
	v_fma_f64 v[88:89], v[0:1], 2.0, -v[76:77]
	v_fma_f64 v[90:91], v[2:3], 2.0, -v[78:79]
	ds_read_b128 v[0:3], v100 offset:6144
	s_waitcnt lgkmcnt(0)
	v_add_f64 v[68:69], v[0:1], -v[16:17]
	v_add_f64 v[70:71], v[2:3], -v[18:19]
	;; [unrolled: 6-line block ×9, first 2 shown]
	v_fma_f64 v[24:25], v[0:1], 2.0, -v[12:13]
	v_fma_f64 v[26:27], v[2:3], 2.0, -v[14:15]
	ds_read_b128 v[0:3], v100 offset:18432
	s_waitcnt lgkmcnt(0)
	s_waitcnt_vscnt null, 0x0
	s_barrier
	buffer_gl0_inv
	ds_write_b128 v100, v[113:116]
	ds_write_b128 v100, v[109:112] offset:11520
	ds_write_b128 v100, v[104:107] offset:1536
	;; [unrolled: 1-line block ×13, first 2 shown]
	v_cndmask_b32_e64 v56, 0, 0x5a0, vcc_lo
	v_add_lshl_u32 v56, v108, v56, 4
	buffer_store_dword v56, off, s[36:39], 0 offset:1680 ; 4-byte Folded Spill
	v_add_f64 v[4:5], v[0:1], -v[125:126]
	v_add_f64 v[6:7], v[2:3], -v[127:128]
	v_fma_f64 v[16:17], v[0:1], 2.0, -v[4:5]
	v_fma_f64 v[18:19], v[2:3], 2.0, -v[6:7]
	v_add_f64 v[0:1], v[8:9], -v[129:130]
	v_add_f64 v[2:3], v[10:11], -v[131:132]
	v_fma_f64 v[8:9], v[8:9], 2.0, -v[0:1]
	v_fma_f64 v[10:11], v[10:11], 2.0, -v[2:3]
	ds_write_b128 v56, v[52:55]
	ds_write_b128 v56, v[44:47] offset:11520
	ds_write_b128 v100, v[48:51] offset:23808
	;; [unrolled: 1-line block ×15, first 2 shown]
	v_add_co_u32 v4, vcc_lo, 0x5800, v102
	v_add_co_ci_u32_e32 v5, vcc_lo, 0, v103, vcc_lo
	s_waitcnt lgkmcnt(0)
	s_waitcnt_vscnt null, 0x0
	s_barrier
	buffer_gl0_inv
	s_clause 0x1
	global_load_dwordx4 v[133:136], v[4:5], off offset:352
	global_load_dwordx4 v[211:214], v[4:5], off offset:1888
	ds_read_b128 v[0:3], v100 offset:23040
	s_waitcnt vmcnt(1) lgkmcnt(0)
	v_mul_f64 v[6:7], v[2:3], v[135:136]
	v_fma_f64 v[8:9], v[0:1], v[133:134], -v[6:7]
	v_mul_f64 v[0:1], v[0:1], v[135:136]
	v_fma_f64 v[10:11], v[2:3], v[133:134], v[0:1]
	ds_read_b128 v[0:3], v100 offset:24576
	s_waitcnt vmcnt(0) lgkmcnt(0)
	v_mul_f64 v[4:5], v[2:3], v[213:214]
	v_fma_f64 v[12:13], v[0:1], v[211:212], -v[4:5]
	v_mul_f64 v[0:1], v[0:1], v[213:214]
	v_fma_f64 v[14:15], v[2:3], v[211:212], v[0:1]
	v_add_co_u32 v0, vcc_lo, 0x6000, v102
	v_add_co_ci_u32_e32 v1, vcc_lo, 0, v103, vcc_lo
	global_load_dwordx4 v[219:222], v[0:1], off offset:1376
	ds_read_b128 v[0:3], v100 offset:26112
	s_waitcnt vmcnt(0) lgkmcnt(0)
	v_mul_f64 v[4:5], v[2:3], v[221:222]
	v_fma_f64 v[16:17], v[0:1], v[219:220], -v[4:5]
	v_mul_f64 v[0:1], v[0:1], v[221:222]
	v_fma_f64 v[18:19], v[2:3], v[219:220], v[0:1]
	v_add_co_u32 v0, vcc_lo, 0x6800, v102
	v_add_co_ci_u32_e32 v1, vcc_lo, 0, v103, vcc_lo
	global_load_dwordx4 v[215:218], v[0:1], off offset:864
	ds_read_b128 v[0:3], v100 offset:27648
	s_waitcnt vmcnt(0) lgkmcnt(0)
	v_mul_f64 v[4:5], v[2:3], v[217:218]
	v_fma_f64 v[20:21], v[0:1], v[215:216], -v[4:5]
	v_add_co_u32 v4, vcc_lo, 0x7000, v102
	v_add_co_ci_u32_e32 v5, vcc_lo, 0, v103, vcc_lo
	v_mul_f64 v[0:1], v[0:1], v[217:218]
	s_clause 0x1
	global_load_dwordx4 v[207:210], v[4:5], off offset:352
	global_load_dwordx4 v[203:206], v[4:5], off offset:1888
	v_fma_f64 v[22:23], v[2:3], v[215:216], v[0:1]
	ds_read_b128 v[0:3], v100 offset:29184
	s_waitcnt vmcnt(1) lgkmcnt(0)
	v_mul_f64 v[6:7], v[2:3], v[209:210]
	v_fma_f64 v[24:25], v[0:1], v[207:208], -v[6:7]
	v_mul_f64 v[0:1], v[0:1], v[209:210]
	v_fma_f64 v[26:27], v[2:3], v[207:208], v[0:1]
	ds_read_b128 v[0:3], v100 offset:30720
	s_waitcnt vmcnt(0) lgkmcnt(0)
	v_mul_f64 v[4:5], v[2:3], v[205:206]
	v_fma_f64 v[28:29], v[0:1], v[203:204], -v[4:5]
	v_mul_f64 v[0:1], v[0:1], v[205:206]
	v_fma_f64 v[30:31], v[2:3], v[203:204], v[0:1]
	v_add_co_u32 v0, vcc_lo, 0x7800, v102
	v_add_co_ci_u32_e32 v1, vcc_lo, 0, v103, vcc_lo
	global_load_dwordx4 v[199:202], v[0:1], off offset:1376
	ds_read_b128 v[0:3], v100 offset:32256
	s_waitcnt vmcnt(0) lgkmcnt(0)
	v_mul_f64 v[4:5], v[2:3], v[201:202]
	v_fma_f64 v[32:33], v[0:1], v[199:200], -v[4:5]
	v_mul_f64 v[0:1], v[0:1], v[201:202]
	v_fma_f64 v[34:35], v[2:3], v[199:200], v[0:1]
	v_add_co_u32 v0, vcc_lo, 0x8000, v102
	v_add_co_ci_u32_e32 v1, vcc_lo, 0, v103, vcc_lo
	global_load_dwordx4 v[195:198], v[0:1], off offset:864
	ds_read_b128 v[0:3], v100 offset:33792
	s_waitcnt vmcnt(0) lgkmcnt(0)
	v_mul_f64 v[4:5], v[2:3], v[197:198]
	v_fma_f64 v[36:37], v[0:1], v[195:196], -v[4:5]
	v_add_co_u32 v4, vcc_lo, 0x8800, v102
	v_add_co_ci_u32_e32 v5, vcc_lo, 0, v103, vcc_lo
	v_mul_f64 v[0:1], v[0:1], v[197:198]
	s_clause 0x1
	global_load_dwordx4 v[191:194], v[4:5], off offset:352
	global_load_dwordx4 v[187:190], v[4:5], off offset:1888
	v_fma_f64 v[38:39], v[2:3], v[195:196], v[0:1]
	;; [unrolled: 35-line block ×3, first 2 shown]
	ds_read_b128 v[0:3], v100 offset:41472
	s_waitcnt vmcnt(1) lgkmcnt(0)
	v_mul_f64 v[6:7], v[2:3], v[177:178]
	v_fma_f64 v[56:57], v[0:1], v[175:176], -v[6:7]
	v_mul_f64 v[0:1], v[0:1], v[177:178]
	v_fma_f64 v[58:59], v[2:3], v[175:176], v[0:1]
	ds_read_b128 v[0:3], v100 offset:43008
	s_waitcnt vmcnt(0) lgkmcnt(0)
	v_mul_f64 v[4:5], v[2:3], v[153:154]
	v_fma_f64 v[121:122], v[0:1], v[151:152], -v[4:5]
	v_mul_f64 v[0:1], v[0:1], v[153:154]
	v_fma_f64 v[123:124], v[2:3], v[151:152], v[0:1]
	v_add_co_u32 v0, vcc_lo, 0xa800, v102
	v_add_co_ci_u32_e32 v1, vcc_lo, 0, v103, vcc_lo
	global_load_dwordx4 v[147:150], v[0:1], off offset:1376
	ds_read_b128 v[0:3], v100 offset:44544
	s_waitcnt vmcnt(0) lgkmcnt(0)
	v_mul_f64 v[4:5], v[2:3], v[149:150]
	v_fma_f64 v[254:255], v[0:1], v[147:148], -v[4:5]
	ds_read_b128 v[4:7], v100
	v_mul_f64 v[0:1], v[0:1], v[149:150]
	s_waitcnt lgkmcnt(0)
	v_add_f64 v[60:61], v[4:5], -v[8:9]
	v_add_f64 v[62:63], v[6:7], -v[10:11]
	ds_read_b128 v[8:11], v100 offset:1536
	v_fma_f64 v[145:146], v[2:3], v[147:148], v[0:1]
	ds_read_b128 v[0:3], v100 offset:21504
	s_waitcnt lgkmcnt(1)
	v_add_f64 v[64:65], v[8:9], -v[12:13]
	v_add_f64 v[66:67], v[10:11], -v[14:15]
	ds_read_b128 v[12:15], v100 offset:3072
	v_fma_f64 v[117:118], v[4:5], 2.0, -v[60:61]
	v_fma_f64 v[119:120], v[6:7], 2.0, -v[62:63]
	s_waitcnt lgkmcnt(1)
	v_add_f64 v[4:5], v[0:1], -v[254:255]
	v_add_f64 v[6:7], v[2:3], -v[145:146]
	v_add_co_u32 v145, s10, s28, v100
	v_add_co_ci_u32_e64 v146, null, s29, 0, s10
	v_fma_f64 v[113:114], v[8:9], 2.0, -v[64:65]
	v_fma_f64 v[115:116], v[10:11], 2.0, -v[66:67]
	s_waitcnt lgkmcnt(0)
	v_add_f64 v[8:9], v[12:13], -v[16:17]
	v_add_f64 v[10:11], v[14:15], -v[18:19]
	ds_read_b128 v[16:19], v100 offset:4608
	v_fma_f64 v[0:1], v[0:1], 2.0, -v[4:5]
	v_fma_f64 v[2:3], v[2:3], 2.0, -v[6:7]
	v_fma_f64 v[109:110], v[12:13], 2.0, -v[8:9]
	v_fma_f64 v[111:112], v[14:15], 2.0, -v[10:11]
	s_waitcnt lgkmcnt(0)
	v_add_f64 v[12:13], v[16:17], -v[20:21]
	v_add_f64 v[14:15], v[18:19], -v[22:23]
	ds_read_b128 v[20:23], v100 offset:6144
	v_fma_f64 v[105:106], v[16:17], 2.0, -v[12:13]
	v_fma_f64 v[107:108], v[18:19], 2.0, -v[14:15]
	s_waitcnt lgkmcnt(0)
	v_add_f64 v[16:17], v[20:21], -v[24:25]
	v_add_f64 v[18:19], v[22:23], -v[26:27]
	ds_read_b128 v[24:27], v100 offset:7680
	v_fma_f64 v[101:102], v[20:21], 2.0, -v[16:17]
	v_fma_f64 v[103:104], v[22:23], 2.0, -v[18:19]
	;; [unrolled: 6-line block ×10, first 2 shown]
	s_waitcnt lgkmcnt(0)
	v_add_f64 v[52:53], v[56:57], -v[121:122]
	v_add_f64 v[54:55], v[58:59], -v[123:124]
	v_fma_f64 v[56:57], v[56:57], 2.0, -v[52:53]
	v_fma_f64 v[58:59], v[58:59], 2.0, -v[54:55]
	ds_write_b128 v100, v[60:63] offset:23040
	ds_write_b128 v100, v[64:67] offset:24576
	;; [unrolled: 1-line block ×15, first 2 shown]
	ds_write_b128 v100, v[117:120]
	ds_write_b128 v100, v[113:116] offset:1536
	ds_write_b128 v100, v[109:112] offset:3072
	;; [unrolled: 1-line block ×14, first 2 shown]
	s_waitcnt lgkmcnt(0)
	s_barrier
	buffer_gl0_inv
	global_load_dwordx4 v[0:3], v100, s[28:29]
	ds_read_b128 v[117:120], v100 offset:30720
	ds_read_b128 v[4:7], v100
	ds_read_b128 v[82:85], v100 offset:43008
	ds_read_b128 v[46:49], v100 offset:1536
	;; [unrolled: 1-line block ×15, first 2 shown]
	s_waitcnt vmcnt(0) lgkmcnt(15)
	v_mul_f64 v[8:9], v[6:7], v[2:3]
	v_mul_f64 v[2:3], v[4:5], v[2:3]
	v_fma_f64 v[129:130], v[4:5], v[0:1], -v[8:9]
	v_fma_f64 v[131:132], v[6:7], v[0:1], v[2:3]
	v_add_co_u32 v0, vcc_lo, 0x1000, v145
	v_add_co_ci_u32_e32 v1, vcc_lo, 0, v146, vcc_lo
	ds_read_b128 v[4:7], v100 offset:4608
	global_load_dwordx4 v[0:3], v[0:1], off offset:512
	s_waitcnt vmcnt(0) lgkmcnt(0)
	v_mul_f64 v[8:9], v[6:7], v[2:3]
	v_mul_f64 v[2:3], v[4:5], v[2:3]
	v_fma_f64 v[125:126], v[4:5], v[0:1], -v[8:9]
	v_fma_f64 v[127:128], v[6:7], v[0:1], v[2:3]
	v_add_co_u32 v0, vcc_lo, 0x2000, v145
	v_add_co_ci_u32_e32 v1, vcc_lo, 0, v146, vcc_lo
	ds_read_b128 v[4:7], v100 offset:9216
	global_load_dwordx4 v[0:3], v[0:1], off offset:1024
	;; [unrolled: 9-line block ×3, first 2 shown]
	s_waitcnt vmcnt(0) lgkmcnt(0)
	v_mul_f64 v[8:9], v[6:7], v[2:3]
	v_mul_f64 v[2:3], v[4:5], v[2:3]
	v_fma_f64 v[36:37], v[4:5], v[0:1], -v[8:9]
	v_fma_f64 v[38:39], v[6:7], v[0:1], v[2:3]
	buffer_load_dword v0, off, s[36:39], 0 offset:596 ; 4-byte Folded Reload
	ds_read_b128 v[4:7], v100 offset:18432
	s_waitcnt vmcnt(0)
	global_load_dwordx4 v[0:3], v0, s[28:29]
	s_waitcnt vmcnt(0) lgkmcnt(0)
	v_mul_f64 v[8:9], v[6:7], v[2:3]
	v_mul_f64 v[2:3], v[4:5], v[2:3]
	v_fma_f64 v[32:33], v[4:5], v[0:1], -v[8:9]
	v_fma_f64 v[34:35], v[6:7], v[0:1], v[2:3]
	v_add_co_u32 v0, vcc_lo, 0x5800, v145
	v_add_co_ci_u32_e32 v1, vcc_lo, 0, v146, vcc_lo
	ds_read_b128 v[4:7], v100 offset:23040
	global_load_dwordx4 v[0:3], v[0:1], off offset:512
	s_waitcnt vmcnt(0) lgkmcnt(0)
	v_mul_f64 v[8:9], v[6:7], v[2:3]
	v_mul_f64 v[2:3], v[4:5], v[2:3]
	v_fma_f64 v[28:29], v[4:5], v[0:1], -v[8:9]
	v_fma_f64 v[30:31], v[6:7], v[0:1], v[2:3]
	v_add_co_u32 v0, vcc_lo, 0x6800, v145
	v_add_co_ci_u32_e32 v1, vcc_lo, 0, v146, vcc_lo
	ds_read_b128 v[4:7], v100 offset:27648
	global_load_dwordx4 v[0:3], v[0:1], off offset:1024
	;; [unrolled: 9-line block ×3, first 2 shown]
	s_waitcnt vmcnt(0) lgkmcnt(0)
	v_mul_f64 v[8:9], v[6:7], v[2:3]
	v_mul_f64 v[2:3], v[4:5], v[2:3]
	v_fma_f64 v[20:21], v[4:5], v[0:1], -v[8:9]
	v_fma_f64 v[22:23], v[6:7], v[0:1], v[2:3]
	buffer_load_dword v0, off, s[36:39], 0 offset:604 ; 4-byte Folded Reload
	ds_read_b128 v[4:7], v100 offset:36864
	s_waitcnt vmcnt(0)
	global_load_dwordx4 v[0:3], v0, s[28:29]
	s_waitcnt vmcnt(0) lgkmcnt(0)
	v_mul_f64 v[8:9], v[6:7], v[2:3]
	v_mul_f64 v[2:3], v[4:5], v[2:3]
	v_fma_f64 v[16:17], v[4:5], v[0:1], -v[8:9]
	v_fma_f64 v[18:19], v[6:7], v[0:1], v[2:3]
	v_add_co_u32 v0, vcc_lo, 0xa000, v145
	v_add_co_ci_u32_e32 v1, vcc_lo, 0, v146, vcc_lo
	global_load_dwordx4 v[40:43], v[0:1], off offset:512
	ds_read_b128 v[0:3], v100 offset:41472
	s_waitcnt vmcnt(0) lgkmcnt(0)
	v_mul_f64 v[4:5], v[2:3], v[42:43]
	v_mul_f64 v[6:7], v[0:1], v[42:43]
	global_load_dwordx4 v[42:45], v100, s[28:29] offset:1536
	v_fma_f64 v[12:13], v[0:1], v[40:41], -v[4:5]
	v_fma_f64 v[14:15], v[2:3], v[40:41], v[6:7]
	s_waitcnt vmcnt(0)
	v_mul_f64 v[0:1], v[48:49], v[44:45]
	v_mul_f64 v[2:3], v[46:47], v[44:45]
	v_fma_f64 v[40:41], v[46:47], v[42:43], -v[0:1]
	buffer_load_dword v0, off, s[36:39], 0 offset:516 ; 4-byte Folded Reload
	v_fma_f64 v[42:43], v[48:49], v[42:43], v[2:3]
	s_waitcnt vmcnt(0)
	global_load_dwordx4 v[46:49], v0, s[28:29]
	s_waitcnt vmcnt(0)
	v_mul_f64 v[0:1], v[52:53], v[48:49]
	v_mul_f64 v[2:3], v[50:51], v[48:49]
	v_fma_f64 v[44:45], v[50:51], v[46:47], -v[0:1]
	v_add_co_u32 v0, vcc_lo, 0x2800, v145
	v_add_co_ci_u32_e32 v1, vcc_lo, 0, v146, vcc_lo
	v_fma_f64 v[46:47], v[52:53], v[46:47], v[2:3]
	global_load_dwordx4 v[50:53], v[0:1], off offset:512
	s_waitcnt vmcnt(0)
	v_mul_f64 v[0:1], v[56:57], v[52:53]
	v_mul_f64 v[2:3], v[54:55], v[52:53]
	v_fma_f64 v[48:49], v[54:55], v[50:51], -v[0:1]
	v_add_co_u32 v0, vcc_lo, 0x3800, v145
	v_add_co_ci_u32_e32 v1, vcc_lo, 0, v146, vcc_lo
	v_fma_f64 v[50:51], v[56:57], v[50:51], v[2:3]
	global_load_dwordx4 v[54:57], v[0:1], off offset:1024
	;; [unrolled: 8-line block ×3, first 2 shown]
	s_waitcnt vmcnt(0)
	v_mul_f64 v[0:1], v[64:65], v[60:61]
	v_mul_f64 v[2:3], v[62:63], v[60:61]
	v_fma_f64 v[56:57], v[62:63], v[58:59], -v[0:1]
	buffer_load_dword v0, off, s[36:39], 0 offset:524 ; 4-byte Folded Reload
	v_fma_f64 v[58:59], v[64:65], v[58:59], v[2:3]
	s_waitcnt vmcnt(0)
	global_load_dwordx4 v[62:65], v0, s[28:29]
	s_waitcnt vmcnt(0)
	v_mul_f64 v[0:1], v[68:69], v[64:65]
	v_mul_f64 v[2:3], v[66:67], v[64:65]
	v_fma_f64 v[60:61], v[66:67], v[62:63], -v[0:1]
	v_add_co_u32 v0, vcc_lo, 0x7000, v145
	v_add_co_ci_u32_e32 v1, vcc_lo, 0, v146, vcc_lo
	v_fma_f64 v[62:63], v[68:69], v[62:63], v[2:3]
	global_load_dwordx4 v[66:69], v[0:1], off offset:512
	s_waitcnt vmcnt(0)
	v_mul_f64 v[0:1], v[72:73], v[68:69]
	v_mul_f64 v[2:3], v[70:71], v[68:69]
	v_fma_f64 v[64:65], v[70:71], v[66:67], -v[0:1]
	v_add_co_u32 v0, vcc_lo, 0x8000, v145
	v_add_co_ci_u32_e32 v1, vcc_lo, 0, v146, vcc_lo
	v_fma_f64 v[66:67], v[72:73], v[66:67], v[2:3]
	global_load_dwordx4 v[70:73], v[0:1], off offset:1024
	;; [unrolled: 8-line block ×3, first 2 shown]
	s_waitcnt vmcnt(0)
	v_mul_f64 v[0:1], v[80:81], v[76:77]
	v_mul_f64 v[2:3], v[78:79], v[76:77]
	v_fma_f64 v[72:73], v[78:79], v[74:75], -v[0:1]
	buffer_load_dword v0, off, s[36:39], 0 offset:528 ; 4-byte Folded Reload
	v_fma_f64 v[74:75], v[80:81], v[74:75], v[2:3]
	s_waitcnt vmcnt(0)
	global_load_dwordx4 v[78:81], v0, s[28:29]
	s_waitcnt vmcnt(0)
	v_mul_f64 v[0:1], v[84:85], v[80:81]
	v_mul_f64 v[2:3], v[82:83], v[80:81]
	v_fma_f64 v[76:77], v[82:83], v[78:79], -v[0:1]
	v_add_co_u32 v0, vcc_lo, 0x800, v145
	v_add_co_ci_u32_e32 v1, vcc_lo, 0, v146, vcc_lo
	v_fma_f64 v[78:79], v[84:85], v[78:79], v[2:3]
	global_load_dwordx4 v[82:85], v[0:1], off offset:1024
	s_waitcnt vmcnt(0)
	v_mul_f64 v[0:1], v[88:89], v[84:85]
	v_mul_f64 v[2:3], v[86:87], v[84:85]
	v_fma_f64 v[80:81], v[86:87], v[82:83], -v[0:1]
	v_add_co_u32 v0, vcc_lo, 0x1800, v145
	v_add_co_ci_u32_e32 v1, vcc_lo, 0, v146, vcc_lo
	v_fma_f64 v[82:83], v[88:89], v[82:83], v[2:3]
	global_load_dwordx4 v[86:89], v[0:1], off offset:1536
	s_waitcnt vmcnt(0)
	v_mul_f64 v[0:1], v[96:97], v[88:89]
	v_mul_f64 v[2:3], v[94:95], v[88:89]
	ds_read_b128 v[88:91], v100 offset:12288
	v_fma_f64 v[84:85], v[94:95], v[86:87], -v[0:1]
	buffer_load_dword v0, off, s[36:39], 0 offset:532 ; 4-byte Folded Reload
	v_fma_f64 v[86:87], v[96:97], v[86:87], v[2:3]
	s_waitcnt vmcnt(0)
	global_load_dwordx4 v[94:97], v0, s[28:29]
	s_waitcnt vmcnt(0) lgkmcnt(0)
	v_mul_f64 v[0:1], v[90:91], v[96:97]
	v_mul_f64 v[2:3], v[88:89], v[96:97]
	v_fma_f64 v[88:89], v[88:89], v[94:95], -v[0:1]
	v_add_co_u32 v0, vcc_lo, 0x4000, v145
	v_add_co_ci_u32_e32 v1, vcc_lo, 0, v146, vcc_lo
	v_fma_f64 v[90:91], v[90:91], v[94:95], v[2:3]
	global_load_dwordx4 v[94:97], v[0:1], off offset:512
	s_waitcnt vmcnt(0)
	v_mul_f64 v[0:1], v[103:104], v[96:97]
	v_mul_f64 v[2:3], v[101:102], v[96:97]
	v_fma_f64 v[96:97], v[101:102], v[94:95], -v[0:1]
	v_add_co_u32 v0, vcc_lo, 0x5000, v145
	v_add_co_ci_u32_e32 v1, vcc_lo, 0, v146, vcc_lo
	v_fma_f64 v[98:99], v[103:104], v[94:95], v[2:3]
	ds_read_b128 v[92:95], v100 offset:35328
	global_load_dwordx4 v[101:104], v[0:1], off offset:1024
	s_waitcnt vmcnt(0)
	v_mul_f64 v[0:1], v[107:108], v[103:104]
	v_mul_f64 v[2:3], v[105:106], v[103:104]
	v_fma_f64 v[103:104], v[105:106], v[101:102], -v[0:1]
	v_add_co_u32 v0, vcc_lo, 0x6000, v145
	v_add_co_ci_u32_e32 v1, vcc_lo, 0, v146, vcc_lo
	v_fma_f64 v[105:106], v[107:108], v[101:102], v[2:3]
	global_load_dwordx4 v[107:110], v[0:1], off offset:1536
	s_waitcnt vmcnt(0)
	v_mul_f64 v[0:1], v[113:114], v[109:110]
	v_mul_f64 v[2:3], v[111:112], v[109:110]
	v_fma_f64 v[109:110], v[111:112], v[107:108], -v[0:1]
	buffer_load_dword v0, off, s[36:39], 0 offset:520 ; 4-byte Folded Reload
	v_fma_f64 v[111:112], v[113:114], v[107:108], v[2:3]
	s_waitcnt vmcnt(0)
	global_load_dwordx4 v[113:116], v0, s[28:29]
	s_waitcnt vmcnt(0)
	v_mul_f64 v[0:1], v[119:120], v[115:116]
	v_mul_f64 v[2:3], v[117:118], v[115:116]
	v_fma_f64 v[115:116], v[117:118], v[113:114], -v[0:1]
	v_add_co_u32 v0, vcc_lo, 0x8800, v145
	v_add_co_ci_u32_e32 v1, vcc_lo, 0, v146, vcc_lo
	v_fma_f64 v[117:118], v[119:120], v[113:114], v[2:3]
	global_load_dwordx4 v[0:3], v[0:1], off offset:512
	s_waitcnt vmcnt(0) lgkmcnt(0)
	v_mul_f64 v[4:5], v[94:95], v[2:3]
	v_mul_f64 v[2:3], v[92:93], v[2:3]
	v_fma_f64 v[92:93], v[92:93], v[0:1], -v[4:5]
	v_fma_f64 v[94:95], v[94:95], v[0:1], v[2:3]
	v_add_co_u32 v0, vcc_lo, 0x9800, v145
	v_add_co_ci_u32_e32 v1, vcc_lo, 0, v146, vcc_lo
	global_load_dwordx4 v[4:7], v[0:1], off offset:1024
	ds_read_b128 v[0:3], v100 offset:39936
	s_waitcnt vmcnt(0) lgkmcnt(0)
	v_mul_f64 v[8:9], v[2:3], v[6:7]
	v_mul_f64 v[6:7], v[0:1], v[6:7]
	v_fma_f64 v[8:9], v[0:1], v[4:5], -v[8:9]
	v_add_co_u32 v0, vcc_lo, 0xa800, v145
	v_add_co_ci_u32_e32 v1, vcc_lo, 0, v146, vcc_lo
	v_fma_f64 v[10:11], v[2:3], v[4:5], v[6:7]
	global_load_dwordx4 v[4:7], v[0:1], off offset:1536
	ds_read_b128 v[0:3], v100 offset:44544
	s_waitcnt vmcnt(0) lgkmcnt(0)
	v_mul_f64 v[101:102], v[2:3], v[6:7]
	v_mul_f64 v[6:7], v[0:1], v[6:7]
	v_fma_f64 v[0:1], v[0:1], v[4:5], -v[101:102]
	v_fma_f64 v[2:3], v[2:3], v[4:5], v[6:7]
	ds_write_b128 v100, v[129:132]
	ds_write_b128 v100, v[125:128] offset:4608
	ds_write_b128 v100, v[121:124] offset:9216
	;; [unrolled: 1-line block ×29, first 2 shown]
	s_waitcnt lgkmcnt(0)
	s_barrier
	buffer_gl0_inv
	ds_read_b128 v[0:3], v100 offset:9216
	ds_read_b128 v[4:7], v100
	ds_read_b128 v[8:11], v100 offset:18432
	s_waitcnt lgkmcnt(1)
	v_add_f64 v[12:13], v[4:5], v[0:1]
	s_waitcnt lgkmcnt(0)
	v_add_f64 v[22:23], v[0:1], -v[8:9]
	v_add_f64 v[24:25], v[8:9], -v[0:1]
	;; [unrolled: 1-line block ×4, first 2 shown]
	v_add_f64 v[16:17], v[12:13], v[8:9]
	v_add_f64 v[12:13], v[6:7], v[2:3]
	;; [unrolled: 1-line block ×3, first 2 shown]
	ds_read_b128 v[12:15], v100 offset:27648
	s_waitcnt lgkmcnt(0)
	v_add_f64 v[20:21], v[8:9], v[12:13]
	v_add_f64 v[32:33], v[10:11], -v[14:15]
	v_add_f64 v[26:27], v[10:11], v[14:15]
	v_add_f64 v[34:35], v[8:9], -v[12:13]
	ds_read_b128 v[8:11], v100 offset:36864
	v_fma_f64 v[84:85], v[20:21], -0.5, v[4:5]
	s_waitcnt lgkmcnt(0)
	v_add_f64 v[36:37], v[2:3], -v[10:11]
	v_add_f64 v[38:39], v[0:1], v[8:9]
	v_add_f64 v[40:41], v[0:1], -v[8:9]
	v_add_f64 v[42:43], v[2:3], v[10:11]
	v_add_f64 v[0:1], v[16:17], v[12:13]
	;; [unrolled: 1-line block ×3, first 2 shown]
	v_add_f64 v[44:45], v[8:9], -v[12:13]
	v_add_f64 v[46:47], v[12:13], -v[8:9]
	;; [unrolled: 1-line block ×4, first 2 shown]
	v_fma_f64 v[86:87], v[26:27], -0.5, v[6:7]
	v_fma_f64 v[38:39], v[38:39], -0.5, v[4:5]
	;; [unrolled: 1-line block ×3, first 2 shown]
	v_add_f64 v[52:53], v[0:1], v[8:9]
	v_add_f64 v[54:55], v[2:3], v[10:11]
	ds_read_b128 v[0:3], v100 offset:13824
	ds_read_b128 v[8:11], v100 offset:4608
	;; [unrolled: 1-line block ×3, first 2 shown]
	v_add_f64 v[48:49], v[28:29], v[48:49]
	v_add_f64 v[28:29], v[30:31], v[50:51]
	;; [unrolled: 1-line block ×4, first 2 shown]
	s_waitcnt lgkmcnt(1)
	v_add_f64 v[16:17], v[8:9], v[0:1]
	s_waitcnt lgkmcnt(0)
	v_add_f64 v[64:65], v[0:1], -v[12:13]
	v_add_f64 v[66:67], v[12:13], -v[0:1]
	;; [unrolled: 1-line block ×4, first 2 shown]
	v_add_f64 v[56:57], v[16:17], v[12:13]
	v_add_f64 v[16:17], v[10:11], v[2:3]
	;; [unrolled: 1-line block ×3, first 2 shown]
	ds_read_b128 v[16:19], v100 offset:32256
	s_waitcnt lgkmcnt(0)
	v_add_f64 v[68:69], v[14:15], v[18:19]
	v_add_f64 v[60:61], v[12:13], v[16:17]
	v_add_f64 v[62:63], v[14:15], -v[18:19]
	v_add_f64 v[70:71], v[12:13], -v[16:17]
	ds_read_b128 v[12:15], v100 offset:41472
	v_fma_f64 v[42:43], v[68:69], -0.5, v[10:11]
	v_fma_f64 v[60:61], v[60:61], -0.5, v[8:9]
	s_waitcnt lgkmcnt(0)
	v_add_f64 v[76:77], v[2:3], -v[14:15]
	v_add_f64 v[78:79], v[0:1], v[12:13]
	v_add_f64 v[80:81], v[0:1], -v[12:13]
	v_add_f64 v[0:1], v[2:3], v[14:15]
	v_add_f64 v[2:3], v[56:57], v[16:17]
	;; [unrolled: 1-line block ×3, first 2 shown]
	v_add_f64 v[82:83], v[14:15], -v[18:19]
	v_add_f64 v[58:59], v[12:13], -v[16:17]
	;; [unrolled: 1-line block ×4, first 2 shown]
	v_fma_f64 v[6:7], v[76:77], s[20:21], v[60:61]
	v_fma_f64 v[68:69], v[78:79], -0.5, v[8:9]
	v_fma_f64 v[4:5], v[80:81], s[18:19], v[42:43]
	v_fma_f64 v[78:79], v[0:1], -0.5, v[10:11]
	v_add_f64 v[2:3], v[2:3], v[12:13]
	v_add_f64 v[56:57], v[56:57], v[14:15]
	v_add_f64 v[30:31], v[66:67], v[16:17]
	v_add_f64 v[46:47], v[74:75], v[18:19]
	v_fma_f64 v[6:7], v[62:63], s[16:17], v[6:7]
	v_fma_f64 v[18:19], v[62:63], s[18:19], v[68:69]
	;; [unrolled: 1-line block ×4, first 2 shown]
	v_add_f64 v[12:13], v[52:53], v[2:3]
	v_add_f64 v[14:15], v[54:55], v[56:57]
	v_add_f64 v[0:1], v[52:53], -v[2:3]
	v_add_f64 v[2:3], v[54:55], -v[56:57]
	v_add_f64 v[54:55], v[72:73], v[82:83]
	v_add_f64 v[52:53], v[64:65], v[58:59]
	v_fma_f64 v[18:19], v[76:77], s[16:17], v[18:19]
	v_fma_f64 v[16:17], v[80:81], s[12:13], v[16:17]
	;; [unrolled: 1-line block ×6, first 2 shown]
	v_mul_f64 v[8:9], v[4:5], s[16:17]
	v_fma_f64 v[20:21], v[6:7], s[22:23], v[8:9]
	v_mul_f64 v[6:7], v[6:7], s[12:13]
	v_fma_f64 v[8:9], v[40:41], s[18:19], v[86:87]
	v_fma_f64 v[6:7], v[4:5], s[22:23], v[6:7]
	;; [unrolled: 1-line block ×7, first 2 shown]
	v_add_f64 v[10:11], v[22:23], v[6:7]
	v_add_f64 v[6:7], v[22:23], -v[6:7]
	v_add_f64 v[8:9], v[4:5], v[20:21]
	v_add_f64 v[4:5], v[4:5], -v[20:21]
	v_mul_f64 v[20:21], v[16:17], s[20:21]
	v_mul_f64 v[16:17], v[16:17], s[14:15]
	v_fma_f64 v[50:51], v[18:19], s[14:15], v[20:21]
	v_fma_f64 v[20:21], v[34:35], s[20:21], v[26:27]
	;; [unrolled: 1-line block ×20, first 2 shown]
	v_add_f64 v[22:23], v[56:57], v[18:19]
	v_add_f64 v[18:19], v[56:57], -v[18:19]
	v_fma_f64 v[28:29], v[80:81], s[16:17], v[28:29]
	v_add_f64 v[20:21], v[16:17], v[50:51]
	v_add_f64 v[16:17], v[16:17], -v[50:51]
	v_fma_f64 v[38:39], v[76:77], s[12:13], v[38:39]
	v_fma_f64 v[32:33], v[44:45], s[14:15], v[32:33]
	;; [unrolled: 1-line block ×5, first 2 shown]
	v_mul_f64 v[38:39], v[28:29], s[20:21]
	v_mul_f64 v[28:29], v[28:29], s[24:25]
	v_fma_f64 v[38:39], v[30:31], s[24:25], v[38:39]
	v_fma_f64 v[46:47], v[30:31], s[18:19], v[28:29]
	v_add_f64 v[28:29], v[24:25], v[38:39]
	v_add_f64 v[24:25], v[24:25], -v[38:39]
	v_fma_f64 v[38:39], v[80:81], s[20:21], v[42:43]
	v_fma_f64 v[42:43], v[76:77], s[18:19], v[60:61]
	v_add_f64 v[30:31], v[26:27], v[46:47]
	v_add_f64 v[26:27], v[26:27], -v[46:47]
	v_fma_f64 v[38:39], v[70:71], s[16:17], v[38:39]
	v_fma_f64 v[36:37], v[62:63], s[12:13], v[42:43]
	;; [unrolled: 1-line block ×4, first 2 shown]
	v_mul_f64 v[40:41], v[38:39], s[16:17]
	v_mul_f64 v[38:39], v[38:39], s[26:27]
	v_fma_f64 v[40:41], v[36:37], s[26:27], v[40:41]
	v_fma_f64 v[42:43], v[36:37], s[12:13], v[38:39]
	v_add_f64 v[36:37], v[32:33], v[40:41]
	v_add_f64 v[38:39], v[34:35], v[42:43]
	v_add_f64 v[32:33], v[32:33], -v[40:41]
	v_add_f64 v[34:35], v[34:35], -v[42:43]
	ds_read_b128 v[80:83], v100 offset:1536
	ds_read_b128 v[84:87], v100 offset:10752
	ds_read_b128 v[92:95], v100 offset:19968
	ds_read_b128 v[88:91], v100 offset:29184
	ds_read_b128 v[96:99], v100 offset:38400
	ds_read_b128 v[40:43], v100 offset:3072
	ds_read_b128 v[44:47], v100 offset:12288
	ds_read_b128 v[52:55], v100 offset:21504
	ds_read_b128 v[48:51], v100 offset:30720
	ds_read_b128 v[56:59], v100 offset:39936
	ds_read_b128 v[101:104], v100 offset:6144
	ds_read_b128 v[60:63], v100 offset:7680
	ds_read_b128 v[105:108], v100 offset:15360
	ds_read_b128 v[72:75], v100 offset:16896
	ds_read_b128 v[109:112], v100 offset:24576
	ds_read_b128 v[76:79], v100 offset:26112
	ds_read_b128 v[113:116], v100 offset:33792
	ds_read_b128 v[64:67], v100 offset:35328
	ds_read_b128 v[117:120], v100 offset:43008
	ds_read_b128 v[68:71], v100 offset:44544
	s_waitcnt lgkmcnt(0)
	s_barrier
	buffer_gl0_inv
	ds_write_b128 v253, v[12:15]
	ds_write_b128 v253, v[0:3] offset:80
	ds_write_b128 v253, v[8:11] offset:16
	;; [unrolled: 1-line block ×9, first 2 shown]
	v_add_f64 v[0:1], v[80:81], v[84:85]
	v_add_f64 v[2:3], v[82:83], v[86:87]
	;; [unrolled: 1-line block ×3, first 2 shown]
	v_add_f64 v[8:9], v[84:85], -v[92:93]
	v_add_f64 v[16:17], v[92:93], -v[84:85]
	;; [unrolled: 1-line block ×4, first 2 shown]
	v_add_f64 v[6:7], v[94:95], v[90:91]
	v_add_f64 v[10:11], v[86:87], -v[94:95]
	v_add_f64 v[18:19], v[94:95], -v[86:87]
	v_add_f64 v[36:37], v[86:87], -v[98:99]
	v_add_f64 v[12:13], v[84:85], v[96:97]
	v_add_f64 v[38:39], v[84:85], -v[96:97]
	v_add_f64 v[14:15], v[86:87], v[98:99]
	v_add_f64 v[20:21], v[96:97], -v[88:89]
	v_add_f64 v[22:23], v[88:89], -v[96:97]
	v_add_f64 v[24:25], v[98:99], -v[90:91]
	v_add_f64 v[26:27], v[90:91], -v[98:99]
	v_add_f64 v[84:85], v[109:110], v[113:114]
	v_add_f64 v[86:87], v[111:112], -v[115:116]
	v_add_f64 v[123:124], v[119:120], -v[115:116]
	;; [unrolled: 1-line block ×3, first 2 shown]
	v_add_f64 v[0:1], v[0:1], v[92:93]
	v_add_f64 v[2:3], v[2:3], v[94:95]
	v_add_f64 v[92:93], v[111:112], v[115:116]
	v_add_f64 v[94:95], v[109:110], -v[113:114]
	v_fma_f64 v[125:126], v[4:5], -0.5, v[80:81]
	v_fma_f64 v[127:128], v[6:7], -0.5, v[82:83]
	;; [unrolled: 1-line block ×4, first 2 shown]
	v_add_f64 v[26:27], v[18:19], v[26:27]
	v_fma_f64 v[84:85], v[84:85], -0.5, v[101:102]
	v_add_f64 v[0:1], v[0:1], v[88:89]
	v_add_f64 v[2:3], v[2:3], v[90:91]
	v_add_f64 v[88:89], v[105:106], -v[109:110]
	v_add_f64 v[90:91], v[109:110], -v[105:106]
	v_fma_f64 v[92:93], v[92:93], -0.5, v[103:104]
	v_add_f64 v[28:29], v[0:1], v[96:97]
	v_add_f64 v[30:31], v[2:3], v[98:99]
	;; [unrolled: 1-line block ×4, first 2 shown]
	v_add_f64 v[96:97], v[107:108], -v[111:112]
	v_add_f64 v[98:99], v[111:112], -v[107:108]
	v_add_f64 v[88:89], v[88:89], v[121:122]
	v_add_f64 v[0:1], v[0:1], v[109:110]
	;; [unrolled: 1-line block ×3, first 2 shown]
	v_add_f64 v[109:110], v[107:108], -v[119:120]
	v_add_f64 v[111:112], v[105:106], v[117:118]
	v_add_f64 v[105:106], v[105:106], -v[117:118]
	v_add_f64 v[107:108], v[107:108], v[119:120]
	v_add_f64 v[96:97], v[96:97], v[123:124]
	;; [unrolled: 1-line block ×4, first 2 shown]
	v_add_f64 v[115:116], v[115:116], -v[119:120]
	v_fma_f64 v[101:102], v[111:112], -0.5, v[101:102]
	v_add_f64 v[111:112], v[10:11], v[24:25]
	v_fma_f64 v[103:104], v[107:108], -0.5, v[103:104]
	v_add_f64 v[107:108], v[8:9], v[20:21]
	v_fma_f64 v[8:9], v[105:106], s[18:19], v[92:93]
	v_fma_f64 v[10:11], v[109:110], s[20:21], v[84:85]
	v_add_f64 v[113:114], v[113:114], -v[117:118]
	v_add_f64 v[117:118], v[0:1], v[117:118]
	v_add_f64 v[119:120], v[2:3], v[119:120]
	v_fma_f64 v[18:19], v[86:87], s[18:19], v[101:102]
	v_fma_f64 v[8:9], v[94:95], s[12:13], v[8:9]
	;; [unrolled: 1-line block ×3, first 2 shown]
	v_add_f64 v[0:1], v[28:29], v[117:118]
	v_add_f64 v[2:3], v[30:31], v[119:120]
	v_add_f64 v[6:7], v[30:31], -v[119:120]
	v_add_f64 v[30:31], v[98:99], v[115:116]
	v_add_f64 v[4:5], v[28:29], -v[117:118]
	v_add_f64 v[28:29], v[90:91], v[113:114]
	v_fma_f64 v[18:19], v[109:110], s[16:17], v[18:19]
	v_fma_f64 v[8:9], v[96:97], s[14:15], v[8:9]
	;; [unrolled: 1-line block ×4, first 2 shown]
	v_mul_f64 v[12:13], v[8:9], s[16:17]
	v_fma_f64 v[12:13], v[10:11], s[22:23], v[12:13]
	v_mul_f64 v[10:11], v[10:11], s[12:13]
	v_fma_f64 v[14:15], v[8:9], s[22:23], v[10:11]
	v_fma_f64 v[10:11], v[38:39], s[18:19], v[127:128]
	;; [unrolled: 1-line block ×7, first 2 shown]
	v_add_f64 v[10:11], v[24:25], v[14:15]
	v_add_f64 v[14:15], v[24:25], -v[14:15]
	v_add_f64 v[24:25], v[16:17], v[22:23]
	v_fma_f64 v[16:17], v[94:95], s[20:21], v[103:104]
	v_add_f64 v[8:9], v[20:21], v[12:13]
	v_add_f64 v[12:13], v[20:21], -v[12:13]
	v_fma_f64 v[16:17], v[105:106], s[12:13], v[16:17]
	v_fma_f64 v[16:17], v[30:31], s[14:15], v[16:17]
	v_mul_f64 v[20:21], v[16:17], s[20:21]
	v_mul_f64 v[16:17], v[16:17], s[14:15]
	v_fma_f64 v[20:21], v[18:19], s[14:15], v[20:21]
	v_fma_f64 v[22:23], v[18:19], s[18:19], v[16:17]
	;; [unrolled: 1-line block ×14, first 2 shown]
	v_add_f64 v[16:17], v[90:91], v[20:21]
	v_add_f64 v[20:21], v[90:91], -v[20:21]
	v_fma_f64 v[24:25], v[38:39], s[16:17], v[24:25]
	v_fma_f64 v[38:39], v[38:39], s[20:21], v[127:128]
	v_add_f64 v[18:19], v[98:99], v[22:23]
	v_add_f64 v[22:23], v[98:99], -v[22:23]
	v_fma_f64 v[82:83], v[26:27], s[14:15], v[24:25]
	v_fma_f64 v[24:25], v[94:95], s[18:19], v[103:104]
	;; [unrolled: 1-line block ×8, first 2 shown]
	v_mul_f64 v[28:29], v[24:25], s[20:21]
	v_mul_f64 v[24:25], v[24:25], s[24:25]
	v_fma_f64 v[28:29], v[26:27], s[24:25], v[28:29]
	v_fma_f64 v[30:31], v[26:27], s[18:19], v[24:25]
	v_add_f64 v[24:25], v[80:81], v[28:29]
	v_add_f64 v[28:29], v[80:81], -v[28:29]
	v_fma_f64 v[80:81], v[105:106], s[20:21], v[92:93]
	v_add_f64 v[26:27], v[82:83], v[30:31]
	v_add_f64 v[30:31], v[82:83], -v[30:31]
	v_fma_f64 v[82:83], v[109:110], s[18:19], v[84:85]
	v_fma_f64 v[80:81], v[94:95], s[16:17], v[80:81]
	;; [unrolled: 1-line block ×7, first 2 shown]
	v_mul_f64 v[34:35], v[38:39], s[16:17]
	v_mul_f64 v[36:37], v[38:39], s[26:27]
	v_fma_f64 v[38:39], v[32:33], s[26:27], v[34:35]
	v_fma_f64 v[84:85], v[32:33], s[12:13], v[36:37]
	v_add_f64 v[32:33], v[80:81], v[38:39]
	v_add_f64 v[34:35], v[82:83], v[84:85]
	v_add_f64 v[36:37], v[80:81], -v[38:39]
	v_add_f64 v[38:39], v[82:83], -v[84:85]
	ds_write_b128 v251, v[0:3]
	ds_write_b128 v251, v[8:11] offset:16
	ds_write_b128 v251, v[16:19] offset:32
	;; [unrolled: 1-line block ×9, first 2 shown]
	v_add_f64 v[0:1], v[40:41], v[44:45]
	v_add_f64 v[2:3], v[42:43], v[46:47]
	;; [unrolled: 1-line block ×3, first 2 shown]
	v_add_f64 v[8:9], v[44:45], -v[52:53]
	v_add_f64 v[16:17], v[52:53], -v[44:45]
	v_add_f64 v[34:35], v[52:53], -v[48:49]
	v_add_f64 v[32:33], v[54:55], -v[50:51]
	v_add_f64 v[6:7], v[54:55], v[50:51]
	v_add_f64 v[10:11], v[46:47], -v[54:55]
	v_add_f64 v[18:19], v[54:55], -v[46:47]
	;; [unrolled: 1-line block ×3, first 2 shown]
	v_add_f64 v[12:13], v[44:45], v[56:57]
	v_add_f64 v[38:39], v[44:45], -v[56:57]
	v_add_f64 v[14:15], v[46:47], v[58:59]
	v_add_f64 v[20:21], v[56:57], -v[48:49]
	v_add_f64 v[22:23], v[48:49], -v[56:57]
	;; [unrolled: 1-line block ×4, first 2 shown]
	v_add_f64 v[44:45], v[76:77], v[64:65]
	v_add_f64 v[46:47], v[78:79], -v[66:67]
	v_add_f64 v[80:81], v[68:69], -v[64:65]
	v_add_f64 v[82:83], v[70:71], -v[66:67]
	v_add_f64 v[0:1], v[0:1], v[52:53]
	v_add_f64 v[2:3], v[2:3], v[54:55]
	;; [unrolled: 1-line block ×3, first 2 shown]
	v_add_f64 v[54:55], v[76:77], -v[64:65]
	v_fma_f64 v[84:85], v[4:5], -0.5, v[40:41]
	v_fma_f64 v[86:87], v[6:7], -0.5, v[42:43]
	;; [unrolled: 1-line block ×4, first 2 shown]
	v_add_f64 v[26:27], v[18:19], v[26:27]
	v_fma_f64 v[44:45], v[44:45], -0.5, v[60:61]
	v_add_f64 v[0:1], v[0:1], v[48:49]
	v_add_f64 v[2:3], v[2:3], v[50:51]
	v_add_f64 v[48:49], v[72:73], -v[76:77]
	v_add_f64 v[50:51], v[76:77], -v[72:73]
	v_fma_f64 v[52:53], v[52:53], -0.5, v[62:63]
	v_add_f64 v[28:29], v[0:1], v[56:57]
	v_add_f64 v[0:1], v[60:61], v[72:73]
	;; [unrolled: 1-line block ×4, first 2 shown]
	v_add_f64 v[56:57], v[74:75], -v[78:79]
	v_add_f64 v[58:59], v[78:79], -v[74:75]
	v_add_f64 v[48:49], v[48:49], v[80:81]
	v_add_f64 v[0:1], v[0:1], v[76:77]
	v_add_f64 v[76:77], v[74:75], -v[70:71]
	v_add_f64 v[2:3], v[2:3], v[78:79]
	v_add_f64 v[78:79], v[72:73], v[68:69]
	;; [unrolled: 3-line block ×3, first 2 shown]
	v_add_f64 v[0:1], v[0:1], v[64:65]
	v_add_f64 v[64:65], v[64:65], -v[68:69]
	v_add_f64 v[2:3], v[2:3], v[66:67]
	v_add_f64 v[66:67], v[66:67], -v[70:71]
	v_fma_f64 v[60:61], v[78:79], -0.5, v[60:61]
	v_fma_f64 v[62:63], v[74:75], -0.5, v[62:63]
	v_add_f64 v[68:69], v[0:1], v[68:69]
	v_add_f64 v[70:71], v[2:3], v[70:71]
	v_fma_f64 v[18:19], v[46:47], s[18:19], v[60:61]
	v_add_f64 v[0:1], v[28:29], v[68:69]
	v_add_f64 v[4:5], v[28:29], -v[68:69]
	v_add_f64 v[68:69], v[8:9], v[20:21]
	v_fma_f64 v[8:9], v[72:73], s[18:19], v[52:53]
	v_add_f64 v[2:3], v[30:31], v[70:71]
	v_add_f64 v[6:7], v[30:31], -v[70:71]
	v_add_f64 v[70:71], v[10:11], v[24:25]
	v_fma_f64 v[10:11], v[76:77], s[20:21], v[44:45]
	v_add_f64 v[30:31], v[58:59], v[66:67]
	v_add_f64 v[28:29], v[50:51], v[64:65]
	v_fma_f64 v[18:19], v[76:77], s[16:17], v[18:19]
	v_fma_f64 v[8:9], v[54:55], s[12:13], v[8:9]
	;; [unrolled: 1-line block ×6, first 2 shown]
	v_mul_f64 v[12:13], v[8:9], s[16:17]
	v_fma_f64 v[12:13], v[10:11], s[22:23], v[12:13]
	v_mul_f64 v[10:11], v[10:11], s[12:13]
	v_fma_f64 v[14:15], v[8:9], s[22:23], v[10:11]
	v_fma_f64 v[10:11], v[38:39], s[18:19], v[86:87]
	;; [unrolled: 1-line block ×7, first 2 shown]
	v_add_f64 v[10:11], v[24:25], v[14:15]
	v_add_f64 v[14:15], v[24:25], -v[14:15]
	v_add_f64 v[24:25], v[16:17], v[22:23]
	v_fma_f64 v[16:17], v[54:55], s[20:21], v[62:63]
	v_add_f64 v[8:9], v[20:21], v[12:13]
	v_add_f64 v[12:13], v[20:21], -v[12:13]
	v_fma_f64 v[16:17], v[72:73], s[12:13], v[16:17]
	v_fma_f64 v[16:17], v[30:31], s[14:15], v[16:17]
	v_mul_f64 v[20:21], v[16:17], s[20:21]
	v_mul_f64 v[16:17], v[16:17], s[14:15]
	v_fma_f64 v[20:21], v[18:19], s[14:15], v[20:21]
	v_fma_f64 v[22:23], v[18:19], s[18:19], v[16:17]
	;; [unrolled: 1-line block ×14, first 2 shown]
	v_add_f64 v[16:17], v[50:51], v[20:21]
	v_add_f64 v[20:21], v[50:51], -v[20:21]
	v_fma_f64 v[24:25], v[38:39], s[16:17], v[24:25]
	v_fma_f64 v[38:39], v[38:39], s[20:21], v[86:87]
	v_add_f64 v[18:19], v[58:59], v[22:23]
	v_add_f64 v[22:23], v[58:59], -v[22:23]
	v_fma_f64 v[42:43], v[26:27], s[14:15], v[24:25]
	v_fma_f64 v[24:25], v[54:55], s[18:19], v[62:63]
	;; [unrolled: 1-line block ×8, first 2 shown]
	v_mul_f64 v[28:29], v[24:25], s[20:21]
	v_mul_f64 v[24:25], v[24:25], s[24:25]
	v_fma_f64 v[28:29], v[26:27], s[24:25], v[28:29]
	v_fma_f64 v[30:31], v[26:27], s[18:19], v[24:25]
	v_add_f64 v[24:25], v[40:41], v[28:29]
	v_add_f64 v[28:29], v[40:41], -v[28:29]
	v_fma_f64 v[40:41], v[72:73], s[20:21], v[52:53]
	v_add_f64 v[26:27], v[42:43], v[30:31]
	v_add_f64 v[30:31], v[42:43], -v[30:31]
	v_fma_f64 v[42:43], v[76:77], s[18:19], v[44:45]
	v_fma_f64 v[40:41], v[54:55], s[16:17], v[40:41]
	;; [unrolled: 1-line block ×7, first 2 shown]
	v_mul_f64 v[34:35], v[38:39], s[16:17]
	v_mul_f64 v[36:37], v[38:39], s[26:27]
	v_fma_f64 v[38:39], v[32:33], s[26:27], v[34:35]
	v_fma_f64 v[44:45], v[32:33], s[12:13], v[36:37]
	v_add_f64 v[32:33], v[40:41], v[38:39]
	v_add_f64 v[34:35], v[42:43], v[44:45]
	v_add_f64 v[36:37], v[40:41], -v[38:39]
	v_add_f64 v[38:39], v[42:43], -v[44:45]
	ds_write_b128 v252, v[0:3]
	ds_write_b128 v252, v[8:11] offset:16
	ds_write_b128 v252, v[16:19] offset:32
	;; [unrolled: 1-line block ×9, first 2 shown]
	s_waitcnt lgkmcnt(0)
	s_barrier
	buffer_gl0_inv
	ds_read_b128 v[0:3], v100 offset:7680
	s_clause 0x3
	buffer_load_dword v10, off, s[36:39], 0 offset:1020
	buffer_load_dword v11, off, s[36:39], 0 offset:1024
	buffer_load_dword v12, off, s[36:39], 0 offset:1028
	buffer_load_dword v13, off, s[36:39], 0 offset:1032
	s_waitcnt vmcnt(0) lgkmcnt(0)
	v_mul_f64 v[4:5], v[12:13], v[2:3]
	v_fma_f64 v[8:9], v[10:11], v[0:1], v[4:5]
	v_mul_f64 v[0:1], v[12:13], v[0:1]
	v_fma_f64 v[10:11], v[10:11], v[2:3], -v[0:1]
	ds_read_b128 v[0:3], v100 offset:15360
	s_clause 0x3
	buffer_load_dword v14, off, s[36:39], 0 offset:1036
	buffer_load_dword v15, off, s[36:39], 0 offset:1040
	buffer_load_dword v16, off, s[36:39], 0 offset:1044
	buffer_load_dword v17, off, s[36:39], 0 offset:1048
	s_waitcnt vmcnt(0) lgkmcnt(0)
	v_mul_f64 v[4:5], v[16:17], v[2:3]
	v_fma_f64 v[12:13], v[14:15], v[0:1], v[4:5]
	v_mul_f64 v[0:1], v[16:17], v[0:1]
	v_fma_f64 v[14:15], v[14:15], v[2:3], -v[0:1]
	;; [unrolled: 11-line block ×24, first 2 shown]
	ds_read_b128 v[0:3], v100 offset:44544
	s_clause 0x3
	buffer_load_dword v110, off, s[36:39], 0 offset:1420
	buffer_load_dword v111, off, s[36:39], 0 offset:1424
	;; [unrolled: 1-line block ×4, first 2 shown]
	s_waitcnt vmcnt(0) lgkmcnt(0)
	v_mul_f64 v[4:5], v[112:113], v[2:3]
	v_fma_f64 v[46:47], v[110:111], v[0:1], v[4:5]
	v_mul_f64 v[0:1], v[112:113], v[0:1]
	v_add_f64 v[4:5], v[12:13], v[20:21]
	v_fma_f64 v[44:45], v[110:111], v[2:3], -v[0:1]
	ds_read_b128 v[0:3], v100
	s_waitcnt lgkmcnt(0)
	v_fma_f64 v[110:111], v[4:5], -0.5, v[0:1]
	v_add_f64 v[4:5], v[14:15], v[22:23]
	v_add_f64 v[0:1], v[0:1], v[12:13]
	v_add_f64 v[12:13], v[12:13], -v[20:21]
	v_fma_f64 v[112:113], v[4:5], -0.5, v[2:3]
	v_add_f64 v[4:5], v[8:9], v[16:17]
	v_add_f64 v[0:1], v[0:1], v[20:21]
	;; [unrolled: 1-line block ×3, first 2 shown]
	v_add_f64 v[14:15], v[14:15], -v[22:23]
	v_add_f64 v[114:115], v[4:5], v[24:25]
	v_add_f64 v[4:5], v[10:11], v[18:19]
	;; [unrolled: 1-line block ×3, first 2 shown]
	v_add_f64 v[22:23], v[18:19], -v[26:27]
	v_add_f64 v[116:117], v[4:5], v[26:27]
	v_add_f64 v[4:5], v[0:1], v[114:115]
	v_add_f64 v[0:1], v[0:1], -v[114:115]
	v_add_f64 v[114:115], v[18:19], v[26:27]
	v_add_f64 v[6:7], v[2:3], v[116:117]
	v_add_f64 v[2:3], v[2:3], -v[116:117]
	v_fma_f64 v[116:117], v[12:13], s[6:7], v[112:113]
	v_fma_f64 v[114:115], v[114:115], -0.5, v[10:11]
	v_add_f64 v[10:11], v[16:17], v[24:25]
	v_add_f64 v[24:25], v[16:17], -v[24:25]
	v_fma_f64 v[20:21], v[10:11], -0.5, v[8:9]
	v_fma_f64 v[8:9], v[24:25], s[6:7], v[114:115]
	v_fma_f64 v[24:25], v[24:25], s[8:9], v[114:115]
	;; [unrolled: 1-line block ×3, first 2 shown]
	v_mul_f64 v[10:11], v[8:9], s[8:9]
	v_mul_f64 v[8:9], v[8:9], 0.5
	v_fma_f64 v[10:11], v[16:17], 0.5, v[10:11]
	v_fma_f64 v[26:27], v[16:17], s[6:7], v[8:9]
	v_fma_f64 v[8:9], v[14:15], s[8:9], v[110:111]
	;; [unrolled: 1-line block ×3, first 2 shown]
	v_add_f64 v[18:19], v[116:117], v[26:27]
	v_add_f64 v[16:17], v[8:9], v[10:11]
	v_add_f64 v[8:9], v[8:9], -v[10:11]
	v_add_f64 v[10:11], v[116:117], -v[26:27]
	v_fma_f64 v[26:27], v[12:13], s[8:9], v[112:113]
	v_fma_f64 v[12:13], v[22:23], s[6:7], v[20:21]
	v_mul_f64 v[20:21], v[24:25], s[8:9]
	v_mul_f64 v[22:23], v[24:25], -0.5
	v_fma_f64 v[24:25], v[12:13], -0.5, v[20:21]
	v_fma_f64 v[110:111], v[12:13], s[6:7], v[22:23]
	v_add_f64 v[20:21], v[14:15], v[24:25]
	v_add_f64 v[22:23], v[26:27], v[110:111]
	v_add_f64 v[12:13], v[14:15], -v[24:25]
	v_add_f64 v[14:15], v[26:27], -v[110:111]
	ds_read_b128 v[24:27], v100 offset:6144
	ds_read_b128 v[110:113], v100 offset:1536
	;; [unrolled: 1-line block ×4, first 2 shown]
	s_waitcnt lgkmcnt(0)
	s_barrier
	buffer_gl0_inv
	buffer_load_dword v101, off, s[36:39], 0 offset:1208 ; 4-byte Folded Reload
	s_waitcnt vmcnt(0)
	ds_write_b128 v101, v[4:7]
	ds_write_b128 v101, v[16:19] offset:160
	ds_write_b128 v101, v[20:23] offset:320
	ds_write_b128 v101, v[0:3] offset:480
	ds_write_b128 v101, v[8:11] offset:640
	ds_write_b128 v101, v[12:15] offset:800
	v_add_f64 v[0:1], v[90:91], v[108:109]
	v_add_f64 v[2:3], v[112:113], v[94:95]
	v_add_f64 v[22:23], v[98:99], -v[106:107]
	v_fma_f64 v[16:17], v[0:1], -0.5, v[110:111]
	v_add_f64 v[0:1], v[94:95], v[102:103]
	v_add_f64 v[6:7], v[2:3], v[102:103]
	v_fma_f64 v[18:19], v[0:1], -0.5, v[112:113]
	v_add_f64 v[0:1], v[110:111], v[90:91]
	v_add_f64 v[90:91], v[90:91], -v[108:109]
	v_add_f64 v[4:5], v[0:1], v[108:109]
	v_add_f64 v[0:1], v[88:89], v[98:99]
	v_add_f64 v[8:9], v[0:1], v[106:107]
	v_add_f64 v[0:1], v[92:93], v[96:97]
	v_add_f64 v[10:11], v[0:1], v[104:105]
	v_add_f64 v[0:1], v[4:5], v[8:9]
	v_add_f64 v[4:5], v[4:5], -v[8:9]
	v_add_f64 v[8:9], v[96:97], v[104:105]
	v_add_f64 v[2:3], v[6:7], v[10:11]
	v_add_f64 v[6:7], v[6:7], -v[10:11]
	v_fma_f64 v[20:21], v[8:9], -0.5, v[92:93]
	v_add_f64 v[8:9], v[98:99], v[106:107]
	v_add_f64 v[92:93], v[94:95], -v[102:103]
	v_add_f64 v[94:95], v[96:97], -v[104:105]
	v_fma_f64 v[98:99], v[90:91], s[6:7], v[18:19]
	v_fma_f64 v[90:91], v[90:91], s[8:9], v[18:19]
	v_fma_f64 v[88:89], v[8:9], -0.5, v[88:89]
	v_fma_f64 v[8:9], v[22:23], s[6:7], v[20:21]
	v_fma_f64 v[20:21], v[22:23], s[8:9], v[20:21]
	v_fma_f64 v[22:23], v[92:93], s[6:7], v[16:17]
	v_fma_f64 v[12:13], v[94:95], s[8:9], v[88:89]
	v_mul_f64 v[10:11], v[8:9], s[8:9]
	v_mul_f64 v[8:9], v[8:9], 0.5
	v_mul_f64 v[18:19], v[20:21], s[8:9]
	v_mul_f64 v[20:21], v[20:21], -0.5
	v_fma_f64 v[14:15], v[12:13], 0.5, v[10:11]
	v_fma_f64 v[96:97], v[12:13], s[6:7], v[8:9]
	v_fma_f64 v[12:13], v[92:93], s[8:9], v[16:17]
	v_fma_f64 v[16:17], v[94:95], s[6:7], v[88:89]
	v_add_f64 v[10:11], v[98:99], v[96:97]
	v_add_f64 v[8:9], v[12:13], v[14:15]
	v_fma_f64 v[88:89], v[16:17], -0.5, v[18:19]
	v_fma_f64 v[92:93], v[16:17], s[6:7], v[20:21]
	v_add_f64 v[12:13], v[12:13], -v[14:15]
	v_add_f64 v[14:15], v[98:99], -v[96:97]
	v_add_f64 v[16:17], v[22:23], v[88:89]
	v_add_f64 v[20:21], v[22:23], -v[88:89]
	buffer_load_dword v88, off, s[36:39], 0 offset:1108 ; 4-byte Folded Reload
	v_add_f64 v[18:19], v[90:91], v[92:93]
	v_add_f64 v[22:23], v[90:91], -v[92:93]
	s_waitcnt vmcnt(0)
	ds_write_b128 v88, v[0:3]
	ds_write_b128 v88, v[8:11] offset:160
	ds_write_b128 v88, v[16:19] offset:320
	ds_write_b128 v88, v[4:7] offset:480
	ds_write_b128 v88, v[12:15] offset:640
	ds_write_b128 v88, v[20:23] offset:800
	v_add_f64 v[0:1], v[70:71], v[80:81]
	v_add_f64 v[2:3], v[116:117], v[74:75]
	v_add_f64 v[22:23], v[78:79], -v[86:87]
	v_fma_f64 v[16:17], v[0:1], -0.5, v[114:115]
	v_add_f64 v[0:1], v[74:75], v[82:83]
	v_add_f64 v[6:7], v[2:3], v[82:83]
	v_fma_f64 v[18:19], v[0:1], -0.5, v[116:117]
	v_add_f64 v[0:1], v[114:115], v[70:71]
	v_add_f64 v[70:71], v[70:71], -v[80:81]
	v_add_f64 v[4:5], v[0:1], v[80:81]
	v_add_f64 v[0:1], v[68:69], v[78:79]
	v_add_f64 v[8:9], v[0:1], v[86:87]
	v_add_f64 v[0:1], v[72:73], v[76:77]
	v_add_f64 v[10:11], v[0:1], v[84:85]
	v_add_f64 v[0:1], v[4:5], v[8:9]
	v_add_f64 v[4:5], v[4:5], -v[8:9]
	v_add_f64 v[8:9], v[76:77], v[84:85]
	v_add_f64 v[2:3], v[6:7], v[10:11]
	v_add_f64 v[6:7], v[6:7], -v[10:11]
	v_fma_f64 v[20:21], v[8:9], -0.5, v[72:73]
	v_add_f64 v[8:9], v[78:79], v[86:87]
	v_add_f64 v[72:73], v[74:75], -v[82:83]
	v_add_f64 v[74:75], v[76:77], -v[84:85]
	v_fma_f64 v[78:79], v[70:71], s[6:7], v[18:19]
	v_fma_f64 v[70:71], v[70:71], s[8:9], v[18:19]
	v_fma_f64 v[68:69], v[8:9], -0.5, v[68:69]
	v_fma_f64 v[8:9], v[22:23], s[6:7], v[20:21]
	v_fma_f64 v[20:21], v[22:23], s[8:9], v[20:21]
	v_fma_f64 v[22:23], v[72:73], s[6:7], v[16:17]
	v_fma_f64 v[12:13], v[74:75], s[8:9], v[68:69]
	v_mul_f64 v[10:11], v[8:9], s[8:9]
	v_mul_f64 v[8:9], v[8:9], 0.5
	v_mul_f64 v[18:19], v[20:21], s[8:9]
	v_mul_f64 v[20:21], v[20:21], -0.5
	v_fma_f64 v[14:15], v[12:13], 0.5, v[10:11]
	v_fma_f64 v[76:77], v[12:13], s[6:7], v[8:9]
	v_fma_f64 v[12:13], v[72:73], s[8:9], v[16:17]
	v_fma_f64 v[16:17], v[74:75], s[6:7], v[68:69]
	v_add_f64 v[10:11], v[78:79], v[76:77]
	v_add_f64 v[8:9], v[12:13], v[14:15]
	v_fma_f64 v[68:69], v[16:17], -0.5, v[18:19]
	v_fma_f64 v[72:73], v[16:17], s[6:7], v[20:21]
	v_add_f64 v[12:13], v[12:13], -v[14:15]
	v_add_f64 v[14:15], v[78:79], -v[76:77]
	v_add_f64 v[16:17], v[22:23], v[68:69]
	v_add_f64 v[20:21], v[22:23], -v[68:69]
	buffer_load_dword v68, off, s[36:39], 0 offset:1104 ; 4-byte Folded Reload
	v_add_f64 v[18:19], v[70:71], v[72:73]
	v_add_f64 v[22:23], v[70:71], -v[72:73]
	;; [unrolled: 56-line block ×3, first 2 shown]
	s_waitcnt vmcnt(0)
	ds_write_b128 v48, v[0:3]
	ds_write_b128 v48, v[8:11] offset:160
	ds_write_b128 v48, v[16:19] offset:320
	;; [unrolled: 1-line block ×5, first 2 shown]
	v_add_f64 v[0:1], v[30:31], v[40:41]
	v_add_f64 v[2:3], v[26:27], v[34:35]
	v_add_f64 v[22:23], v[38:39], -v[46:47]
	v_fma_f64 v[16:17], v[0:1], -0.5, v[24:25]
	v_add_f64 v[0:1], v[34:35], v[42:43]
	v_add_f64 v[6:7], v[2:3], v[42:43]
	v_fma_f64 v[18:19], v[0:1], -0.5, v[26:27]
	v_add_f64 v[0:1], v[24:25], v[30:31]
	v_add_f64 v[26:27], v[30:31], -v[40:41]
	v_add_f64 v[30:31], v[36:37], -v[44:45]
	;; [unrolled: 1-line block ×3, first 2 shown]
	v_add_f64 v[4:5], v[0:1], v[40:41]
	v_add_f64 v[0:1], v[28:29], v[38:39]
	v_fma_f64 v[34:35], v[26:27], s[6:7], v[18:19]
	v_add_f64 v[8:9], v[0:1], v[46:47]
	v_add_f64 v[0:1], v[32:33], v[36:37]
	;; [unrolled: 1-line block ×4, first 2 shown]
	v_add_f64 v[4:5], v[4:5], -v[8:9]
	v_add_f64 v[8:9], v[36:37], v[44:45]
	v_add_f64 v[2:3], v[6:7], v[10:11]
	v_add_f64 v[6:7], v[6:7], -v[10:11]
	v_fma_f64 v[20:21], v[8:9], -0.5, v[32:33]
	v_add_f64 v[8:9], v[38:39], v[46:47]
	v_fma_f64 v[28:29], v[8:9], -0.5, v[28:29]
	v_fma_f64 v[8:9], v[22:23], s[6:7], v[20:21]
	v_fma_f64 v[20:21], v[22:23], s[8:9], v[20:21]
	;; [unrolled: 1-line block ×4, first 2 shown]
	v_mul_f64 v[10:11], v[8:9], s[8:9]
	v_mul_f64 v[8:9], v[8:9], 0.5
	v_fma_f64 v[14:15], v[12:13], 0.5, v[10:11]
	v_fma_f64 v[32:33], v[12:13], s[6:7], v[8:9]
	v_fma_f64 v[12:13], v[24:25], s[8:9], v[16:17]
	;; [unrolled: 1-line block ×4, first 2 shown]
	v_mul_f64 v[18:19], v[20:21], s[8:9]
	v_mul_f64 v[20:21], v[20:21], -0.5
	v_add_f64 v[10:11], v[34:35], v[32:33]
	v_add_f64 v[8:9], v[12:13], v[14:15]
	v_add_f64 v[12:13], v[12:13], -v[14:15]
	v_add_f64 v[14:15], v[34:35], -v[32:33]
	v_fma_f64 v[26:27], v[16:17], -0.5, v[18:19]
	v_fma_f64 v[28:29], v[16:17], s[6:7], v[20:21]
	v_add_f64 v[16:17], v[22:23], v[26:27]
	v_add_f64 v[18:19], v[24:25], v[28:29]
	v_add_f64 v[20:21], v[22:23], -v[26:27]
	v_add_f64 v[22:23], v[24:25], -v[28:29]
	buffer_load_dword v24, off, s[36:39], 0 offset:776 ; 4-byte Folded Reload
	s_waitcnt vmcnt(0)
	ds_write_b128 v24, v[0:3]
	ds_write_b128 v24, v[8:11] offset:160
	ds_write_b128 v24, v[16:19] offset:320
	ds_write_b128 v24, v[4:7] offset:480
	ds_write_b128 v24, v[12:15] offset:640
	ds_write_b128 v24, v[20:23] offset:800
	s_waitcnt lgkmcnt(0)
	s_barrier
	buffer_gl0_inv
	ds_read_b128 v[0:3], v100 offset:7680
	s_clause 0x3
	buffer_load_dword v10, off, s[36:39], 0 offset:616
	buffer_load_dword v11, off, s[36:39], 0 offset:620
	buffer_load_dword v12, off, s[36:39], 0 offset:624
	buffer_load_dword v13, off, s[36:39], 0 offset:628
	s_waitcnt vmcnt(0) lgkmcnt(0)
	v_mul_f64 v[4:5], v[12:13], v[2:3]
	v_fma_f64 v[8:9], v[10:11], v[0:1], v[4:5]
	v_mul_f64 v[0:1], v[12:13], v[0:1]
	v_fma_f64 v[10:11], v[10:11], v[2:3], -v[0:1]
	ds_read_b128 v[0:3], v100 offset:15360
	s_clause 0x3
	buffer_load_dword v14, off, s[36:39], 0 offset:632
	buffer_load_dword v15, off, s[36:39], 0 offset:636
	buffer_load_dword v16, off, s[36:39], 0 offset:640
	buffer_load_dword v17, off, s[36:39], 0 offset:644
	s_waitcnt vmcnt(0) lgkmcnt(0)
	v_mul_f64 v[4:5], v[16:17], v[2:3]
	v_fma_f64 v[12:13], v[14:15], v[0:1], v[4:5]
	v_mul_f64 v[0:1], v[16:17], v[0:1]
	v_fma_f64 v[14:15], v[14:15], v[2:3], -v[0:1]
	;; [unrolled: 11-line block ×24, first 2 shown]
	ds_read_b128 v[0:3], v100 offset:44544
	s_clause 0x3
	buffer_load_dword v110, off, s[36:39], 0 offset:1004
	buffer_load_dword v111, off, s[36:39], 0 offset:1008
	;; [unrolled: 1-line block ×4, first 2 shown]
	s_waitcnt vmcnt(0) lgkmcnt(0)
	v_mul_f64 v[4:5], v[112:113], v[2:3]
	v_fma_f64 v[46:47], v[110:111], v[0:1], v[4:5]
	v_mul_f64 v[0:1], v[112:113], v[0:1]
	v_add_f64 v[4:5], v[12:13], v[20:21]
	v_fma_f64 v[44:45], v[110:111], v[2:3], -v[0:1]
	ds_read_b128 v[0:3], v100
	s_waitcnt lgkmcnt(0)
	v_fma_f64 v[110:111], v[4:5], -0.5, v[0:1]
	v_add_f64 v[4:5], v[14:15], v[22:23]
	v_add_f64 v[0:1], v[0:1], v[12:13]
	v_add_f64 v[12:13], v[12:13], -v[20:21]
	v_fma_f64 v[112:113], v[4:5], -0.5, v[2:3]
	v_add_f64 v[4:5], v[8:9], v[16:17]
	v_add_f64 v[0:1], v[0:1], v[20:21]
	;; [unrolled: 1-line block ×3, first 2 shown]
	v_add_f64 v[14:15], v[14:15], -v[22:23]
	v_add_f64 v[114:115], v[4:5], v[24:25]
	v_add_f64 v[4:5], v[10:11], v[18:19]
	;; [unrolled: 1-line block ×3, first 2 shown]
	v_add_f64 v[22:23], v[18:19], -v[26:27]
	v_add_f64 v[116:117], v[4:5], v[26:27]
	v_add_f64 v[4:5], v[0:1], v[114:115]
	v_add_f64 v[0:1], v[0:1], -v[114:115]
	v_add_f64 v[114:115], v[18:19], v[26:27]
	v_add_f64 v[6:7], v[2:3], v[116:117]
	v_add_f64 v[2:3], v[2:3], -v[116:117]
	v_fma_f64 v[116:117], v[12:13], s[6:7], v[112:113]
	v_fma_f64 v[114:115], v[114:115], -0.5, v[10:11]
	v_add_f64 v[10:11], v[16:17], v[24:25]
	v_add_f64 v[24:25], v[16:17], -v[24:25]
	v_fma_f64 v[20:21], v[10:11], -0.5, v[8:9]
	v_fma_f64 v[8:9], v[24:25], s[6:7], v[114:115]
	v_fma_f64 v[24:25], v[24:25], s[8:9], v[114:115]
	;; [unrolled: 1-line block ×3, first 2 shown]
	v_mul_f64 v[10:11], v[8:9], s[8:9]
	v_mul_f64 v[8:9], v[8:9], 0.5
	v_fma_f64 v[10:11], v[16:17], 0.5, v[10:11]
	v_fma_f64 v[26:27], v[16:17], s[6:7], v[8:9]
	v_fma_f64 v[8:9], v[14:15], s[8:9], v[110:111]
	;; [unrolled: 1-line block ×3, first 2 shown]
	v_add_f64 v[18:19], v[116:117], v[26:27]
	v_add_f64 v[16:17], v[8:9], v[10:11]
	v_add_f64 v[8:9], v[8:9], -v[10:11]
	v_add_f64 v[10:11], v[116:117], -v[26:27]
	v_fma_f64 v[26:27], v[12:13], s[8:9], v[112:113]
	v_fma_f64 v[12:13], v[22:23], s[6:7], v[20:21]
	v_mul_f64 v[20:21], v[24:25], s[8:9]
	v_mul_f64 v[22:23], v[24:25], -0.5
	v_fma_f64 v[24:25], v[12:13], -0.5, v[20:21]
	v_fma_f64 v[110:111], v[12:13], s[6:7], v[22:23]
	v_add_f64 v[20:21], v[14:15], v[24:25]
	v_add_f64 v[22:23], v[26:27], v[110:111]
	v_add_f64 v[12:13], v[14:15], -v[24:25]
	v_add_f64 v[14:15], v[26:27], -v[110:111]
	ds_read_b128 v[24:27], v100 offset:6144
	ds_read_b128 v[110:113], v100 offset:1536
	;; [unrolled: 1-line block ×4, first 2 shown]
	s_waitcnt lgkmcnt(0)
	s_barrier
	buffer_gl0_inv
	buffer_load_dword v101, off, s[36:39], 0 offset:612 ; 4-byte Folded Reload
	s_waitcnt vmcnt(0)
	ds_write_b128 v101, v[4:7]
	ds_write_b128 v101, v[16:19] offset:960
	ds_write_b128 v101, v[20:23] offset:1920
	ds_write_b128 v101, v[0:3] offset:2880
	ds_write_b128 v101, v[8:11] offset:3840
	ds_write_b128 v101, v[12:15] offset:4800
	v_add_f64 v[0:1], v[90:91], v[108:109]
	v_add_f64 v[2:3], v[112:113], v[94:95]
	v_add_f64 v[22:23], v[98:99], -v[106:107]
	v_fma_f64 v[16:17], v[0:1], -0.5, v[110:111]
	v_add_f64 v[0:1], v[94:95], v[102:103]
	v_add_f64 v[6:7], v[2:3], v[102:103]
	v_fma_f64 v[18:19], v[0:1], -0.5, v[112:113]
	v_add_f64 v[0:1], v[110:111], v[90:91]
	v_add_f64 v[90:91], v[90:91], -v[108:109]
	v_add_f64 v[4:5], v[0:1], v[108:109]
	v_add_f64 v[0:1], v[88:89], v[98:99]
	v_add_f64 v[8:9], v[0:1], v[106:107]
	v_add_f64 v[0:1], v[92:93], v[96:97]
	v_add_f64 v[10:11], v[0:1], v[104:105]
	v_add_f64 v[0:1], v[4:5], v[8:9]
	v_add_f64 v[4:5], v[4:5], -v[8:9]
	v_add_f64 v[8:9], v[96:97], v[104:105]
	v_add_f64 v[2:3], v[6:7], v[10:11]
	v_add_f64 v[6:7], v[6:7], -v[10:11]
	v_fma_f64 v[20:21], v[8:9], -0.5, v[92:93]
	v_add_f64 v[8:9], v[98:99], v[106:107]
	v_add_f64 v[92:93], v[94:95], -v[102:103]
	v_add_f64 v[94:95], v[96:97], -v[104:105]
	v_fma_f64 v[98:99], v[90:91], s[6:7], v[18:19]
	v_fma_f64 v[90:91], v[90:91], s[8:9], v[18:19]
	v_fma_f64 v[88:89], v[8:9], -0.5, v[88:89]
	v_fma_f64 v[8:9], v[22:23], s[6:7], v[20:21]
	v_fma_f64 v[20:21], v[22:23], s[8:9], v[20:21]
	v_fma_f64 v[22:23], v[92:93], s[6:7], v[16:17]
	v_fma_f64 v[12:13], v[94:95], s[8:9], v[88:89]
	v_mul_f64 v[10:11], v[8:9], s[8:9]
	v_mul_f64 v[8:9], v[8:9], 0.5
	v_mul_f64 v[18:19], v[20:21], s[8:9]
	v_mul_f64 v[20:21], v[20:21], -0.5
	v_fma_f64 v[14:15], v[12:13], 0.5, v[10:11]
	v_fma_f64 v[96:97], v[12:13], s[6:7], v[8:9]
	v_fma_f64 v[12:13], v[92:93], s[8:9], v[16:17]
	v_fma_f64 v[16:17], v[94:95], s[6:7], v[88:89]
	v_add_f64 v[10:11], v[98:99], v[96:97]
	v_add_f64 v[8:9], v[12:13], v[14:15]
	v_fma_f64 v[88:89], v[16:17], -0.5, v[18:19]
	v_fma_f64 v[92:93], v[16:17], s[6:7], v[20:21]
	v_add_f64 v[12:13], v[12:13], -v[14:15]
	v_add_f64 v[14:15], v[98:99], -v[96:97]
	v_add_f64 v[16:17], v[22:23], v[88:89]
	v_add_f64 v[20:21], v[22:23], -v[88:89]
	buffer_load_dword v88, off, s[36:39], 0 offset:608 ; 4-byte Folded Reload
	v_add_f64 v[18:19], v[90:91], v[92:93]
	v_add_f64 v[22:23], v[90:91], -v[92:93]
	s_waitcnt vmcnt(0)
	ds_write_b128 v88, v[0:3]
	ds_write_b128 v88, v[8:11] offset:960
	ds_write_b128 v88, v[16:19] offset:1920
	ds_write_b128 v88, v[4:7] offset:2880
	ds_write_b128 v88, v[12:15] offset:3840
	ds_write_b128 v88, v[20:23] offset:4800
	v_add_f64 v[0:1], v[70:71], v[80:81]
	v_add_f64 v[2:3], v[116:117], v[74:75]
	v_add_f64 v[22:23], v[78:79], -v[86:87]
	v_fma_f64 v[16:17], v[0:1], -0.5, v[114:115]
	v_add_f64 v[0:1], v[74:75], v[82:83]
	v_add_f64 v[6:7], v[2:3], v[82:83]
	v_fma_f64 v[18:19], v[0:1], -0.5, v[116:117]
	v_add_f64 v[0:1], v[114:115], v[70:71]
	v_add_f64 v[70:71], v[70:71], -v[80:81]
	v_add_f64 v[4:5], v[0:1], v[80:81]
	v_add_f64 v[0:1], v[68:69], v[78:79]
	v_add_f64 v[8:9], v[0:1], v[86:87]
	v_add_f64 v[0:1], v[72:73], v[76:77]
	v_add_f64 v[10:11], v[0:1], v[84:85]
	v_add_f64 v[0:1], v[4:5], v[8:9]
	v_add_f64 v[4:5], v[4:5], -v[8:9]
	v_add_f64 v[8:9], v[76:77], v[84:85]
	v_add_f64 v[2:3], v[6:7], v[10:11]
	v_add_f64 v[6:7], v[6:7], -v[10:11]
	v_fma_f64 v[20:21], v[8:9], -0.5, v[72:73]
	v_add_f64 v[8:9], v[78:79], v[86:87]
	v_add_f64 v[72:73], v[74:75], -v[82:83]
	v_add_f64 v[74:75], v[76:77], -v[84:85]
	v_fma_f64 v[78:79], v[70:71], s[6:7], v[18:19]
	v_fma_f64 v[70:71], v[70:71], s[8:9], v[18:19]
	v_fma_f64 v[68:69], v[8:9], -0.5, v[68:69]
	v_fma_f64 v[8:9], v[22:23], s[6:7], v[20:21]
	v_fma_f64 v[20:21], v[22:23], s[8:9], v[20:21]
	v_fma_f64 v[22:23], v[72:73], s[6:7], v[16:17]
	v_fma_f64 v[12:13], v[74:75], s[8:9], v[68:69]
	v_mul_f64 v[10:11], v[8:9], s[8:9]
	v_mul_f64 v[8:9], v[8:9], 0.5
	v_mul_f64 v[18:19], v[20:21], s[8:9]
	v_mul_f64 v[20:21], v[20:21], -0.5
	v_fma_f64 v[14:15], v[12:13], 0.5, v[10:11]
	v_fma_f64 v[76:77], v[12:13], s[6:7], v[8:9]
	v_fma_f64 v[12:13], v[72:73], s[8:9], v[16:17]
	v_fma_f64 v[16:17], v[74:75], s[6:7], v[68:69]
	v_add_f64 v[10:11], v[78:79], v[76:77]
	v_add_f64 v[8:9], v[12:13], v[14:15]
	v_fma_f64 v[68:69], v[16:17], -0.5, v[18:19]
	v_fma_f64 v[72:73], v[16:17], s[6:7], v[20:21]
	v_add_f64 v[12:13], v[12:13], -v[14:15]
	v_add_f64 v[14:15], v[78:79], -v[76:77]
	v_add_f64 v[16:17], v[22:23], v[68:69]
	v_add_f64 v[20:21], v[22:23], -v[68:69]
	buffer_load_dword v68, off, s[36:39], 0 offset:600 ; 4-byte Folded Reload
	v_add_f64 v[18:19], v[70:71], v[72:73]
	v_add_f64 v[22:23], v[70:71], -v[72:73]
	;; [unrolled: 56-line block ×3, first 2 shown]
	s_waitcnt vmcnt(0)
	ds_write_b128 v48, v[0:3]
	ds_write_b128 v48, v[8:11] offset:960
	ds_write_b128 v48, v[16:19] offset:1920
	;; [unrolled: 1-line block ×5, first 2 shown]
	v_add_f64 v[0:1], v[30:31], v[40:41]
	v_add_f64 v[2:3], v[26:27], v[34:35]
	v_add_f64 v[22:23], v[38:39], -v[46:47]
	v_fma_f64 v[16:17], v[0:1], -0.5, v[24:25]
	v_add_f64 v[0:1], v[34:35], v[42:43]
	v_add_f64 v[6:7], v[2:3], v[42:43]
	v_fma_f64 v[18:19], v[0:1], -0.5, v[26:27]
	v_add_f64 v[0:1], v[24:25], v[30:31]
	v_add_f64 v[26:27], v[30:31], -v[40:41]
	v_add_f64 v[30:31], v[36:37], -v[44:45]
	;; [unrolled: 1-line block ×3, first 2 shown]
	v_add_f64 v[4:5], v[0:1], v[40:41]
	v_add_f64 v[0:1], v[28:29], v[38:39]
	v_fma_f64 v[34:35], v[26:27], s[6:7], v[18:19]
	v_add_f64 v[8:9], v[0:1], v[46:47]
	v_add_f64 v[0:1], v[32:33], v[36:37]
	;; [unrolled: 1-line block ×4, first 2 shown]
	v_add_f64 v[4:5], v[4:5], -v[8:9]
	v_add_f64 v[8:9], v[36:37], v[44:45]
	v_add_f64 v[2:3], v[6:7], v[10:11]
	v_add_f64 v[6:7], v[6:7], -v[10:11]
	v_fma_f64 v[20:21], v[8:9], -0.5, v[32:33]
	v_add_f64 v[8:9], v[38:39], v[46:47]
	v_fma_f64 v[28:29], v[8:9], -0.5, v[28:29]
	v_fma_f64 v[8:9], v[22:23], s[6:7], v[20:21]
	v_fma_f64 v[20:21], v[22:23], s[8:9], v[20:21]
	;; [unrolled: 1-line block ×4, first 2 shown]
	v_mul_f64 v[10:11], v[8:9], s[8:9]
	v_mul_f64 v[8:9], v[8:9], 0.5
	v_fma_f64 v[14:15], v[12:13], 0.5, v[10:11]
	v_fma_f64 v[32:33], v[12:13], s[6:7], v[8:9]
	v_fma_f64 v[12:13], v[24:25], s[8:9], v[16:17]
	v_fma_f64 v[24:25], v[26:27], s[8:9], v[18:19]
	v_fma_f64 v[16:17], v[30:31], s[6:7], v[28:29]
	v_mul_f64 v[18:19], v[20:21], s[8:9]
	v_mul_f64 v[20:21], v[20:21], -0.5
	s_mul_i32 s8, s1, 0xffff6400
	s_sub_i32 s8, s8, s0
	v_add_f64 v[10:11], v[34:35], v[32:33]
	v_add_f64 v[8:9], v[12:13], v[14:15]
	v_add_f64 v[12:13], v[12:13], -v[14:15]
	v_add_f64 v[14:15], v[34:35], -v[32:33]
	v_fma_f64 v[26:27], v[16:17], -0.5, v[18:19]
	v_fma_f64 v[28:29], v[16:17], s[6:7], v[20:21]
	s_mul_i32 s6, s1, 0x2400
	s_mul_hi_u32 s7, s0, 0x2400
	s_add_i32 s6, s7, s6
	s_mul_i32 s7, s0, 0x2400
	v_add_f64 v[16:17], v[22:23], v[26:27]
	v_add_f64 v[18:19], v[24:25], v[28:29]
	v_add_f64 v[20:21], v[22:23], -v[26:27]
	v_add_f64 v[22:23], v[24:25], -v[28:29]
	buffer_load_dword v24, off, s[36:39], 0 offset:588 ; 4-byte Folded Reload
	s_waitcnt vmcnt(0)
	ds_write_b128 v24, v[0:3]
	ds_write_b128 v24, v[8:11] offset:960
	ds_write_b128 v24, v[16:19] offset:1920
	;; [unrolled: 1-line block ×5, first 2 shown]
	s_waitcnt lgkmcnt(0)
	s_barrier
	buffer_gl0_inv
	ds_read_b128 v[0:3], v100 offset:23040
	s_clause 0x3
	buffer_load_dword v6, off, s[36:39], 0 offset:540
	buffer_load_dword v7, off, s[36:39], 0 offset:544
	buffer_load_dword v8, off, s[36:39], 0 offset:548
	buffer_load_dword v9, off, s[36:39], 0 offset:552
	s_waitcnt vmcnt(0) lgkmcnt(0)
	v_mul_f64 v[4:5], v[8:9], v[2:3]
	v_fma_f64 v[4:5], v[6:7], v[0:1], v[4:5]
	v_mul_f64 v[0:1], v[8:9], v[0:1]
	v_fma_f64 v[6:7], v[6:7], v[2:3], -v[0:1]
	ds_read_b128 v[0:3], v100 offset:24576
	s_clause 0x3
	buffer_load_dword v10, off, s[36:39], 0 offset:556
	buffer_load_dword v11, off, s[36:39], 0 offset:560
	buffer_load_dword v12, off, s[36:39], 0 offset:564
	buffer_load_dword v13, off, s[36:39], 0 offset:568
	s_waitcnt vmcnt(0) lgkmcnt(0)
	v_mul_f64 v[8:9], v[12:13], v[2:3]
	v_fma_f64 v[8:9], v[10:11], v[0:1], v[8:9]
	v_mul_f64 v[0:1], v[12:13], v[0:1]
	v_fma_f64 v[10:11], v[10:11], v[2:3], -v[0:1]
	;; [unrolled: 11-line block ×9, first 2 shown]
	ds_read_b128 v[0:3], v100 offset:36864
	s_waitcnt lgkmcnt(0)
	v_mul_f64 v[12:13], v[249:250], v[2:3]
	v_fma_f64 v[52:53], v[247:248], v[0:1], v[12:13]
	v_mul_f64 v[0:1], v[249:250], v[0:1]
	v_fma_f64 v[54:55], v[247:248], v[2:3], -v[0:1]
	ds_read_b128 v[0:3], v100 offset:38400
	s_waitcnt lgkmcnt(0)
	v_mul_f64 v[12:13], v[245:246], v[2:3]
	v_fma_f64 v[48:49], v[243:244], v[0:1], v[12:13]
	v_mul_f64 v[0:1], v[245:246], v[0:1]
	v_fma_f64 v[50:51], v[243:244], v[2:3], -v[0:1]
	;; [unrolled: 6-line block ×6, first 2 shown]
	ds_read_b128 v[0:3], v100
	s_waitcnt lgkmcnt(0)
	v_add_f64 v[20:21], v[0:1], -v[4:5]
	v_add_f64 v[22:23], v[2:3], -v[6:7]
	v_fma_f64 v[28:29], v[0:1], 2.0, -v[20:21]
	v_fma_f64 v[30:31], v[2:3], 2.0, -v[22:23]
	ds_read_b128 v[0:3], v100 offset:1536
	s_waitcnt lgkmcnt(0)
	v_add_f64 v[12:13], v[0:1], -v[8:9]
	v_add_f64 v[14:15], v[2:3], -v[10:11]
	ds_read_b128 v[8:11], v100 offset:4608
	v_fma_f64 v[24:25], v[0:1], 2.0, -v[12:13]
	v_fma_f64 v[26:27], v[2:3], 2.0, -v[14:15]
	ds_read_b128 v[0:3], v100 offset:3072
	s_waitcnt lgkmcnt(0)
	v_add_f64 v[4:5], v[0:1], -v[16:17]
	v_add_f64 v[6:7], v[2:3], -v[18:19]
	v_fma_f64 v[16:17], v[0:1], 2.0, -v[4:5]
	v_fma_f64 v[18:19], v[2:3], 2.0, -v[6:7]
	v_add_f64 v[0:1], v[8:9], -v[76:77]
	v_add_f64 v[2:3], v[10:11], -v[78:79]
	ds_read_b128 v[76:79], v100 offset:21504
	ds_read_b128 v[80:83], v100 offset:6144
	;; [unrolled: 1-line block ×11, first 2 shown]
	s_waitcnt lgkmcnt(0)
	s_barrier
	buffer_gl0_inv
	ds_write_b128 v100, v[28:31]
	ds_write_b128 v100, v[20:23] offset:5760
	ds_write_b128 v100, v[24:27] offset:1536
	;; [unrolled: 1-line block ×5, first 2 shown]
	buffer_load_dword v4, off, s[36:39], 0 offset:1596 ; 4-byte Folded Reload
	v_add_f64 v[16:17], v[88:89], -v[68:69]
	v_add_f64 v[18:19], v[90:91], -v[70:71]
	;; [unrolled: 1-line block ×3, first 2 shown]
	v_fma_f64 v[8:9], v[8:9], 2.0, -v[0:1]
	v_fma_f64 v[10:11], v[10:11], 2.0, -v[2:3]
	s_waitcnt vmcnt(0)
	ds_write_b128 v4, v[8:11]
	ds_write_b128 v4, v[0:3] offset:5760
	v_add_f64 v[0:1], v[80:81], -v[60:61]
	v_add_f64 v[2:3], v[82:83], -v[62:63]
	;; [unrolled: 1-line block ×4, first 2 shown]
	v_fma_f64 v[20:21], v[88:89], 2.0, -v[16:17]
	v_fma_f64 v[22:23], v[90:91], 2.0, -v[18:19]
	v_add_f64 v[26:27], v[94:95], -v[74:75]
	v_fma_f64 v[28:29], v[92:93], 2.0, -v[24:25]
	v_fma_f64 v[4:5], v[80:81], 2.0, -v[0:1]
	v_fma_f64 v[6:7], v[82:83], 2.0, -v[2:3]
	v_fma_f64 v[12:13], v[84:85], 2.0, -v[8:9]
	v_fma_f64 v[14:15], v[86:87], 2.0, -v[10:11]
	ds_write_b128 v100, v[4:7] offset:11904
	ds_write_b128 v100, v[0:3] offset:17664
	;; [unrolled: 1-line block ×6, first 2 shown]
	buffer_load_dword v0, off, s[36:39], 0 offset:1592 ; 4-byte Folded Reload
	v_fma_f64 v[30:31], v[94:95], 2.0, -v[26:27]
	s_waitcnt vmcnt(0)
	ds_write_b128 v0, v[28:31]
	ds_write_b128 v0, v[24:27] offset:5760
	buffer_load_dword v8, off, s[36:39], 0 offset:1588 ; 4-byte Folded Reload
	v_add_f64 v[0:1], v[96:97], -v[56:57]
	v_add_f64 v[2:3], v[98:99], -v[58:59]
	v_fma_f64 v[4:5], v[96:97], 2.0, -v[0:1]
	v_fma_f64 v[6:7], v[98:99], 2.0, -v[2:3]
	s_waitcnt vmcnt(0)
	ds_write_b128 v8, v[4:7] offset:23040
	ds_write_b128 v8, v[0:3] offset:28800
	buffer_load_dword v8, off, s[36:39], 0 offset:1584 ; 4-byte Folded Reload
	v_add_f64 v[0:1], v[101:102], -v[52:53]
	v_add_f64 v[2:3], v[103:104], -v[54:55]
	v_fma_f64 v[4:5], v[101:102], 2.0, -v[0:1]
	v_fma_f64 v[6:7], v[103:104], 2.0, -v[2:3]
	s_waitcnt vmcnt(0)
	ds_write_b128 v8, v[4:7] offset:23040
	;; [unrolled: 8-line block ×3, first 2 shown]
	ds_write_b128 v8, v[0:3] offset:28800
	buffer_load_dword v8, off, s[36:39], 0 offset:1576 ; 4-byte Folded Reload
	v_add_f64 v[0:1], v[109:110], -v[44:45]
	v_add_f64 v[2:3], v[111:112], -v[46:47]
	v_fma_f64 v[4:5], v[109:110], 2.0, -v[0:1]
	v_fma_f64 v[6:7], v[111:112], 2.0, -v[2:3]
	s_waitcnt vmcnt(0)
	ds_write_b128 v8, v[4:7]
	ds_write_b128 v8, v[0:3] offset:5760
	buffer_load_dword v8, off, s[36:39], 0 offset:1572 ; 4-byte Folded Reload
	v_add_f64 v[0:1], v[113:114], -v[40:41]
	v_add_f64 v[2:3], v[115:116], -v[42:43]
	v_fma_f64 v[4:5], v[113:114], 2.0, -v[0:1]
	v_fma_f64 v[6:7], v[115:116], 2.0, -v[2:3]
	s_waitcnt vmcnt(0)
	ds_write_b128 v8, v[4:7] offset:34560
	ds_write_b128 v8, v[0:3] offset:40320
	buffer_load_dword v8, off, s[36:39], 0 offset:1568 ; 4-byte Folded Reload
	v_add_f64 v[0:1], v[117:118], -v[36:37]
	v_add_f64 v[2:3], v[119:120], -v[38:39]
	v_fma_f64 v[4:5], v[117:118], 2.0, -v[0:1]
	v_fma_f64 v[6:7], v[119:120], 2.0, -v[2:3]
	s_waitcnt vmcnt(0)
	ds_write_b128 v8, v[4:7] offset:34560
	;; [unrolled: 8-line block ×3, first 2 shown]
	ds_write_b128 v8, v[0:3] offset:40320
	s_waitcnt lgkmcnt(0)
	s_barrier
	buffer_gl0_inv
	ds_read_b128 v[0:3], v100 offset:23040
	s_clause 0x3
	buffer_load_dword v6, off, s[36:39], 0 offset:1452
	buffer_load_dword v7, off, s[36:39], 0 offset:1456
	buffer_load_dword v8, off, s[36:39], 0 offset:1460
	buffer_load_dword v9, off, s[36:39], 0 offset:1464
	s_waitcnt vmcnt(0) lgkmcnt(0)
	v_mul_f64 v[4:5], v[8:9], v[2:3]
	v_fma_f64 v[4:5], v[6:7], v[0:1], v[4:5]
	v_mul_f64 v[0:1], v[8:9], v[0:1]
	v_fma_f64 v[6:7], v[6:7], v[2:3], -v[0:1]
	ds_read_b128 v[0:3], v100 offset:24576
	s_clause 0x3
	buffer_load_dword v10, off, s[36:39], 0 offset:1468
	buffer_load_dword v11, off, s[36:39], 0 offset:1472
	buffer_load_dword v12, off, s[36:39], 0 offset:1476
	buffer_load_dword v13, off, s[36:39], 0 offset:1480
	s_waitcnt vmcnt(0) lgkmcnt(0)
	v_mul_f64 v[8:9], v[12:13], v[2:3]
	v_fma_f64 v[8:9], v[10:11], v[0:1], v[8:9]
	v_mul_f64 v[0:1], v[12:13], v[0:1]
	v_fma_f64 v[10:11], v[10:11], v[2:3], -v[0:1]
	;; [unrolled: 11-line block ×6, first 2 shown]
	ds_read_b128 v[0:3], v100 offset:32256
	s_clause 0x3
	buffer_load_dword v26, off, s[36:39], 0 offset:1552
	buffer_load_dword v27, off, s[36:39], 0 offset:1556
	;; [unrolled: 1-line block ×4, first 2 shown]
	ds_read_b128 v[32:35], v100 offset:7680
	ds_read_b128 v[44:47], v100 offset:9216
	;; [unrolled: 1-line block ×3, first 2 shown]
	s_waitcnt vmcnt(0) lgkmcnt(3)
	v_mul_f64 v[24:25], v[28:29], v[2:3]
	v_fma_f64 v[48:49], v[26:27], v[0:1], v[24:25]
	v_mul_f64 v[0:1], v[28:29], v[0:1]
	v_fma_f64 v[50:51], v[26:27], v[2:3], -v[0:1]
	ds_read_b128 v[0:3], v100 offset:33792
	s_waitcnt lgkmcnt(0)
	v_mul_f64 v[24:25], v[225:226], v[2:3]
	v_fma_f64 v[92:93], v[223:224], v[0:1], v[24:25]
	v_mul_f64 v[0:1], v[225:226], v[0:1]
	v_fma_f64 v[94:95], v[223:224], v[2:3], -v[0:1]
	ds_read_b128 v[0:3], v100 offset:35328
	s_waitcnt lgkmcnt(0)
	;; [unrolled: 6-line block ×8, first 2 shown]
	v_mul_f64 v[24:25], v[139:140], v[2:3]
	v_fma_f64 v[88:89], v[137:138], v[0:1], v[24:25]
	v_mul_f64 v[0:1], v[139:140], v[0:1]
	v_fma_f64 v[90:91], v[137:138], v[2:3], -v[0:1]
	ds_read_b128 v[0:3], v100
	s_waitcnt lgkmcnt(0)
	v_add_f64 v[40:41], v[0:1], -v[4:5]
	v_add_f64 v[42:43], v[2:3], -v[6:7]
	v_fma_f64 v[60:61], v[0:1], 2.0, -v[40:41]
	v_fma_f64 v[62:63], v[2:3], 2.0, -v[42:43]
	ds_read_b128 v[0:3], v100 offset:1536
	s_waitcnt lgkmcnt(0)
	v_add_f64 v[24:25], v[0:1], -v[8:9]
	v_add_f64 v[26:27], v[2:3], -v[10:11]
	ds_read_b128 v[8:11], v100 offset:4608
	v_fma_f64 v[52:53], v[0:1], 2.0, -v[24:25]
	v_fma_f64 v[54:55], v[2:3], 2.0, -v[26:27]
	ds_read_b128 v[0:3], v100 offset:3072
	s_waitcnt lgkmcnt(0)
	v_add_f64 v[4:5], v[0:1], -v[12:13]
	v_add_f64 v[6:7], v[2:3], -v[14:15]
	v_fma_f64 v[28:29], v[0:1], 2.0, -v[4:5]
	v_fma_f64 v[30:31], v[2:3], 2.0, -v[6:7]
	v_add_f64 v[0:1], v[8:9], -v[16:17]
	v_add_f64 v[2:3], v[10:11], -v[18:19]
	ds_read_b128 v[16:19], v100 offset:6144
	v_fma_f64 v[12:13], v[8:9], 2.0, -v[0:1]
	v_fma_f64 v[14:15], v[10:11], 2.0, -v[2:3]
	s_waitcnt lgkmcnt(0)
	v_add_f64 v[8:9], v[16:17], -v[20:21]
	v_add_f64 v[10:11], v[18:19], -v[22:23]
	v_fma_f64 v[20:21], v[16:17], 2.0, -v[8:9]
	v_fma_f64 v[22:23], v[18:19], 2.0, -v[10:11]
	v_add_f64 v[16:17], v[32:33], -v[36:37]
	v_add_f64 v[18:19], v[34:35], -v[38:39]
	v_fma_f64 v[36:37], v[32:33], 2.0, -v[16:17]
	v_fma_f64 v[38:39], v[34:35], 2.0, -v[18:19]
	;; [unrolled: 4-line block ×3, first 2 shown]
	v_add_f64 v[44:45], v[56:57], -v[92:93]
	v_add_f64 v[46:47], v[58:59], -v[94:95]
	ds_read_b128 v[92:95], v100 offset:21504
	ds_read_b128 v[96:99], v100 offset:12288
	;; [unrolled: 1-line block ×7, first 2 shown]
	s_waitcnt lgkmcnt(0)
	s_barrier
	buffer_gl0_inv
	ds_write_b128 v100, v[60:63]
	ds_write_b128 v100, v[40:43] offset:11520
	ds_write_b128 v100, v[52:55] offset:1536
	;; [unrolled: 1-line block ×13, first 2 shown]
	buffer_load_dword v0, off, s[36:39], 0 offset:1680 ; 4-byte Folded Reload
	v_add_f64 v[48:49], v[92:93], -v[88:89]
	v_add_f64 v[2:3], v[98:99], -v[66:67]
	;; [unrolled: 1-line block ×6, first 2 shown]
	v_fma_f64 v[56:57], v[56:57], 2.0, -v[44:45]
	v_fma_f64 v[58:59], v[58:59], 2.0, -v[46:47]
	s_waitcnt vmcnt(0)
	ds_write_b128 v0, v[56:59]
	ds_write_b128 v0, v[44:47] offset:11520
	v_add_f64 v[0:1], v[96:97], -v[64:65]
	v_add_f64 v[24:25], v[109:110], -v[76:77]
	;; [unrolled: 1-line block ×8, first 2 shown]
	v_fma_f64 v[6:7], v[98:99], 2.0, -v[2:3]
	v_fma_f64 v[12:13], v[101:102], 2.0, -v[8:9]
	;; [unrolled: 1-line block ×14, first 2 shown]
	ds_write_b128 v100, v[4:7] offset:23808
	ds_write_b128 v100, v[0:3] offset:35328
	;; [unrolled: 1-line block ×14, first 2 shown]
	s_waitcnt lgkmcnt(0)
	s_barrier
	buffer_gl0_inv
	ds_read_b128 v[0:3], v100 offset:23040
	s_waitcnt lgkmcnt(0)
	v_mul_f64 v[4:5], v[135:136], v[2:3]
	v_fma_f64 v[4:5], v[133:134], v[0:1], v[4:5]
	v_mul_f64 v[0:1], v[135:136], v[0:1]
	v_fma_f64 v[6:7], v[133:134], v[2:3], -v[0:1]
	ds_read_b128 v[0:3], v100 offset:24576
	s_waitcnt lgkmcnt(0)
	v_mul_f64 v[8:9], v[213:214], v[2:3]
	v_fma_f64 v[8:9], v[211:212], v[0:1], v[8:9]
	v_mul_f64 v[0:1], v[213:214], v[0:1]
	v_fma_f64 v[10:11], v[211:212], v[2:3], -v[0:1]
	;; [unrolled: 6-line block ×15, first 2 shown]
	ds_read_b128 v[0:3], v100
	s_waitcnt lgkmcnt(0)
	v_add_f64 v[116:117], v[0:1], -v[4:5]
	v_add_f64 v[118:119], v[2:3], -v[6:7]
	v_fma_f64 v[108:109], v[0:1], 2.0, -v[116:117]
	v_fma_f64 v[110:111], v[2:3], 2.0, -v[118:119]
	ds_read_b128 v[0:3], v100 offset:1536
	s_waitcnt lgkmcnt(0)
	v_add_f64 v[92:93], v[0:1], -v[8:9]
	v_add_f64 v[94:95], v[2:3], -v[10:11]
	ds_read_b128 v[8:11], v100 offset:19968
	v_fma_f64 v[104:105], v[0:1], 2.0, -v[92:93]
	v_fma_f64 v[106:107], v[2:3], 2.0, -v[94:95]
	ds_read_b128 v[0:3], v100 offset:3072
	s_waitcnt lgkmcnt(0)
	v_add_f64 v[84:85], v[0:1], -v[12:13]
	v_add_f64 v[86:87], v[2:3], -v[14:15]
	v_fma_f64 v[96:97], v[0:1], 2.0, -v[84:85]
	v_fma_f64 v[98:99], v[2:3], 2.0, -v[86:87]
	ds_read_b128 v[0:3], v100 offset:4608
	s_waitcnt lgkmcnt(0)
	v_add_f64 v[76:77], v[0:1], -v[16:17]
	v_add_f64 v[78:79], v[2:3], -v[18:19]
	;; [unrolled: 6-line block ×10, first 2 shown]
	ds_read_b128 v[120:123], v100 offset:21504
	v_fma_f64 v[24:25], v[0:1], 2.0, -v[12:13]
	v_fma_f64 v[26:27], v[2:3], 2.0, -v[14:15]
	ds_read_b128 v[0:3], v100 offset:18432
	s_waitcnt lgkmcnt(1)
	v_add_f64 v[124:125], v[120:121], -v[114:115]
	s_waitcnt lgkmcnt(0)
	v_add_f64 v[4:5], v[0:1], -v[126:127]
	v_add_f64 v[6:7], v[2:3], -v[128:129]
	;; [unrolled: 1-line block ×3, first 2 shown]
	v_fma_f64 v[112:113], v[120:121], 2.0, -v[124:125]
	v_fma_f64 v[16:17], v[0:1], 2.0, -v[4:5]
	v_add_f64 v[0:1], v[8:9], -v[130:131]
	v_fma_f64 v[18:19], v[2:3], 2.0, -v[6:7]
	v_add_f64 v[2:3], v[10:11], -v[132:133]
	v_fma_f64 v[114:115], v[122:123], 2.0, -v[126:127]
	v_fma_f64 v[8:9], v[8:9], 2.0, -v[0:1]
	;; [unrolled: 1-line block ×3, first 2 shown]
	ds_write_b128 v100, v[108:111]
	ds_write_b128 v100, v[116:119] offset:23040
	ds_write_b128 v100, v[104:107] offset:1536
	;; [unrolled: 1-line block ×29, first 2 shown]
	s_waitcnt lgkmcnt(0)
	s_barrier
	buffer_gl0_inv
	ds_read_b128 v[0:3], v100
	s_clause 0x3
	buffer_load_dword v6, off, s[36:39], 0 offset:376
	buffer_load_dword v7, off, s[36:39], 0 offset:380
	buffer_load_dword v8, off, s[36:39], 0 offset:384
	buffer_load_dword v9, off, s[36:39], 0 offset:388
	s_waitcnt vmcnt(0) lgkmcnt(0)
	v_mul_f64 v[4:5], v[8:9], v[2:3]
	v_fma_f64 v[36:37], v[6:7], v[0:1], v[4:5]
	v_mul_f64 v[0:1], v[8:9], v[0:1]
	v_fma_f64 v[38:39], v[6:7], v[2:3], -v[0:1]
	ds_read_b128 v[0:3], v100 offset:4608
	s_clause 0x3
	buffer_load_dword v6, off, s[36:39], 0 offset:424
	buffer_load_dword v7, off, s[36:39], 0 offset:428
	buffer_load_dword v8, off, s[36:39], 0 offset:432
	buffer_load_dword v9, off, s[36:39], 0 offset:436
	s_waitcnt vmcnt(0) lgkmcnt(0)
	v_mul_f64 v[4:5], v[8:9], v[2:3]
	v_fma_f64 v[32:33], v[6:7], v[0:1], v[4:5]
	v_mul_f64 v[0:1], v[8:9], v[0:1]
	v_fma_f64 v[34:35], v[6:7], v[2:3], -v[0:1]
	ds_read_b128 v[0:3], v100 offset:9216
	;; [unrolled: 11-line block ×9, first 2 shown]
	s_clause 0x3
	buffer_load_dword v44, off, s[36:39], 0 offset:488
	buffer_load_dword v45, off, s[36:39], 0 offset:492
	buffer_load_dword v46, off, s[36:39], 0 offset:496
	buffer_load_dword v47, off, s[36:39], 0 offset:500
	s_waitcnt vmcnt(0) lgkmcnt(0)
	v_mul_f64 v[0:1], v[46:47], v[42:43]
	v_mul_f64 v[2:3], v[46:47], v[40:41]
	v_fma_f64 v[0:1], v[44:45], v[40:41], v[0:1]
	v_fma_f64 v[2:3], v[44:45], v[42:43], -v[2:3]
	ds_read_b128 v[40:43], v100 offset:1536
	s_clause 0x3
	buffer_load_dword v46, off, s[36:39], 0 offset:280
	buffer_load_dword v47, off, s[36:39], 0 offset:284
	buffer_load_dword v48, off, s[36:39], 0 offset:288
	buffer_load_dword v49, off, s[36:39], 0 offset:292
	s_waitcnt vmcnt(0) lgkmcnt(0)
	v_mul_f64 v[44:45], v[48:49], v[42:43]
	v_fma_f64 v[44:45], v[46:47], v[40:41], v[44:45]
	v_mul_f64 v[40:41], v[48:49], v[40:41]
	v_fma_f64 v[46:47], v[46:47], v[42:43], -v[40:41]
	ds_read_b128 v[40:43], v100 offset:6144
	s_clause 0x3
	buffer_load_dword v50, off, s[36:39], 0 offset:200
	buffer_load_dword v51, off, s[36:39], 0 offset:204
	buffer_load_dword v52, off, s[36:39], 0 offset:208
	buffer_load_dword v53, off, s[36:39], 0 offset:212
	s_waitcnt vmcnt(0) lgkmcnt(0)
	v_mul_f64 v[48:49], v[52:53], v[42:43]
	v_fma_f64 v[48:49], v[50:51], v[40:41], v[48:49]
	v_mul_f64 v[40:41], v[52:53], v[40:41]
	;; [unrolled: 11-line block ×5, first 2 shown]
	v_fma_f64 v[62:63], v[62:63], v[42:43], -v[40:41]
	s_clause 0x1
	buffer_load_dword v41, off, s[36:39], 0
	buffer_load_dword v42, off, s[36:39], 0 offset:4
	s_waitcnt vmcnt(1)
	v_mad_u64_u32 v[64:65], null, s2, v41, 0
	v_mov_b32_e32 v40, v65
	v_mad_u64_u32 v[40:41], null, s3, v41, v[40:41]
	buffer_load_dword v41, off, s[36:39], 0 offset:536 ; 4-byte Folded Reload
	s_mov_b32 s2, 0x16c16c17
	s_mov_b32 s3, 0x3f36c16c
	s_waitcnt vmcnt(1)
	v_mul_f64 v[42:43], v[38:39], s[2:3]
	v_mul_f64 v[32:33], v[32:33], s[2:3]
	v_mov_b32_e32 v65, v40
	v_mul_f64 v[34:35], v[34:35], s[2:3]
	v_mul_f64 v[24:25], v[24:25], s[2:3]
	;; [unrolled: 1-line block ×7, first 2 shown]
	s_waitcnt vmcnt(0)
	v_mad_u64_u32 v[66:67], null, s0, v41, 0
	v_mov_b32_e32 v40, v67
	v_mad_u64_u32 v[40:41], null, s1, v41, v[40:41]
	v_mov_b32_e32 v67, v40
	v_mul_f64 v[40:41], v[36:37], s[2:3]
	v_lshlrev_b64 v[36:37], 4, v[64:65]
	v_lshlrev_b64 v[38:39], 4, v[66:67]
	v_add_co_u32 v36, vcc_lo, s4, v36
	v_add_co_ci_u32_e32 v37, vcc_lo, s5, v37, vcc_lo
	s_mul_i32 s4, s1, 0x1200
	v_add_co_u32 v38, vcc_lo, v36, v38
	v_add_co_ci_u32_e32 v39, vcc_lo, v37, v39, vcc_lo
	s_mul_hi_u32 s5, s0, 0x1200
	s_add_i32 s4, s5, s4
	s_mul_i32 s5, s0, 0x1200
	global_store_dwordx4 v[38:39], v[40:43], off
	v_add_co_u32 v38, vcc_lo, v38, s5
	v_add_co_ci_u32_e32 v39, vcc_lo, s4, v39, vcc_lo
	global_store_dwordx4 v[38:39], v[32:35], off
	v_mul_f64 v[32:33], v[18:19], s[2:3]
	v_mul_f64 v[34:35], v[26:27], s[2:3]
	;; [unrolled: 1-line block ×4, first 2 shown]
	v_add_co_u32 v26, vcc_lo, v38, s5
	v_add_co_ci_u32_e32 v27, vcc_lo, s4, v39, vcc_lo
	global_store_dwordx4 v[26:27], v[32:35], off
	v_add_co_u32 v26, vcc_lo, v26, s5
	v_add_co_ci_u32_e32 v27, vcc_lo, s4, v27, vcc_lo
	buffer_load_dword v32, off, s[36:39], 0 offset:8 ; 4-byte Folded Reload
	global_store_dwordx4 v[26:27], v[18:21], off
	v_mul_f64 v[18:19], v[22:23], s[2:3]
	buffer_load_dword v23, off, s[36:39], 0 offset:512 ; 4-byte Folded Reload
	v_mul_f64 v[20:21], v[30:31], s[2:3]
	s_waitcnt vmcnt(0)
	v_mad_u64_u32 v[28:29], null, s0, v23, 0
	v_mov_b32_e32 v22, v29
	v_mad_u64_u32 v[22:23], null, s1, v23, v[22:23]
	v_mov_b32_e32 v29, v22
	v_mul_f64 v[22:23], v[16:17], s[2:3]
	v_lshlrev_b64 v[16:17], 4, v[28:29]
	v_add_co_u32 v16, vcc_lo, v36, v16
	v_add_co_ci_u32_e32 v17, vcc_lo, v37, v17, vcc_lo
	v_add_co_u32 v30, vcc_lo, v26, s7
	v_add_co_ci_u32_e32 v31, vcc_lo, s6, v27, vcc_lo
	global_store_dwordx4 v[16:17], v[18:21], off
	v_mad_u64_u32 v[20:21], null, s0, v32, 0
	v_mul_f64 v[16:17], v[10:11], s[2:3]
	v_mul_f64 v[18:19], v[14:15], s[2:3]
	v_add_co_u32 v14, vcc_lo, v30, s5
	global_store_dwordx4 v[30:31], v[22:25], off
	ds_read_b128 v[26:29], v100 offset:24576
	v_mov_b32_e32 v10, v21
	v_add_co_ci_u32_e32 v15, vcc_lo, s4, v31, vcc_lo
	v_mad_u64_u32 v[10:11], null, s1, v32, v[10:11]
	s_clause 0x3
	buffer_load_dword v30, off, s[36:39], 0 offset:184
	buffer_load_dword v31, off, s[36:39], 0 offset:188
	;; [unrolled: 1-line block ×4, first 2 shown]
	v_mov_b32_e32 v21, v10
	v_mul_f64 v[10:11], v[12:13], s[2:3]
	global_store_dwordx4 v[14:15], v[16:19], off
	v_add_co_u32 v16, vcc_lo, v14, s5
	v_add_co_ci_u32_e32 v17, vcc_lo, s4, v15, vcc_lo
	ds_read_b128 v[12:15], v100 offset:29184
	v_lshlrev_b64 v[18:19], 4, v[20:21]
	v_add_co_u32 v18, vcc_lo, v36, v18
	v_add_co_ci_u32_e32 v19, vcc_lo, v37, v19, vcc_lo
	v_add_co_u32 v38, vcc_lo, v16, s7
	v_add_co_ci_u32_e32 v39, vcc_lo, s6, v17, vcc_lo
	v_mad_u64_u32 v[40:41], null, 0xffff6400, s0, v[38:39]
	v_add_nc_u32_e32 v41, s8, v41
	s_mul_i32 s8, s1, 0xffff7600
	s_sub_i32 s8, s8, s0
	s_waitcnt vmcnt(0) lgkmcnt(1)
	v_mul_f64 v[22:23], v[32:33], v[28:29]
	v_mul_f64 v[24:25], v[32:33], v[26:27]
	buffer_load_dword v32, off, s[36:39], 0 offset:504 ; 4-byte Folded Reload
	v_fma_f64 v[42:43], v[30:31], v[26:27], v[22:23]
	s_clause 0x3
	buffer_load_dword v20, off, s[36:39], 0 offset:264
	buffer_load_dword v21, off, s[36:39], 0 offset:268
	;; [unrolled: 1-line block ×4, first 2 shown]
	v_fma_f64 v[64:65], v[30:31], v[28:29], -v[24:25]
	global_store_dwordx4 v[16:17], v[4:7], off
	global_store_dwordx4 v[18:19], v[8:11], off
	;; [unrolled: 1-line block ×3, first 2 shown]
	ds_read_b128 v[4:7], v100 offset:3072
	ds_read_b128 v[8:11], v100 offset:12288
	;; [unrolled: 1-line block ×3, first 2 shown]
	v_mul_f64 v[0:1], v[56:57], s[2:3]
	v_mul_f64 v[2:3], v[58:59], s[2:3]
	;; [unrolled: 1-line block ×3, first 2 shown]
	s_waitcnt vmcnt(4)
	v_mad_u64_u32 v[28:29], null, s0, v32, 0
	s_waitcnt vmcnt(2)
	v_mov_b32_e32 v31, v21
	v_mov_b32_e32 v30, v20
	;; [unrolled: 1-line block ×3, first 2 shown]
	s_waitcnt vmcnt(0) lgkmcnt(3)
	v_mul_f64 v[24:25], v[22:23], v[14:15]
	v_mul_f64 v[26:27], v[22:23], v[12:13]
	;; [unrolled: 1-line block ×3, first 2 shown]
	v_mad_u64_u32 v[20:21], null, s1, v32, v[20:21]
	ds_read_b128 v[32:35], v100 offset:38400
	v_mov_b32_e32 v29, v20
	v_mul_f64 v[20:21], v[44:45], s[2:3]
	v_lshlrev_b64 v[44:45], 4, v[28:29]
	v_mul_f64 v[28:29], v[52:53], s[2:3]
	buffer_load_dword v52, off, s[36:39], 0 offset:52 ; 4-byte Folded Reload
	v_fma_f64 v[46:47], v[30:31], v[12:13], v[24:25]
	v_fma_f64 v[66:67], v[30:31], v[14:15], -v[26:27]
	v_mul_f64 v[24:25], v[48:49], s[2:3]
	v_mul_f64 v[26:27], v[50:51], s[2:3]
	v_mul_f64 v[30:31], v[54:55], s[2:3]
	ds_read_b128 v[12:15], v100 offset:33792
	s_clause 0x3
	buffer_load_dword v53, off, s[36:39], 0 offset:232
	buffer_load_dword v54, off, s[36:39], 0 offset:236
	;; [unrolled: 1-line block ×4, first 2 shown]
	v_add_co_u32 v38, vcc_lo, v36, v44
	v_add_co_ci_u32_e32 v39, vcc_lo, v37, v45, vcc_lo
	global_store_dwordx4 v[40:41], v[20:23], off
	v_add_co_u32 v40, vcc_lo, v40, s7
	v_add_co_ci_u32_e32 v41, vcc_lo, s6, v41, vcc_lo
	v_mul_f64 v[46:47], v[46:47], s[2:3]
	global_store_dwordx4 v[38:39], v[24:27], off
	global_store_dwordx4 v[40:41], v[28:31], off
	s_waitcnt vmcnt(4)
	v_mad_u64_u32 v[50:51], null, s0, v52, 0
	v_mov_b32_e32 v20, v51
	s_waitcnt vmcnt(0) lgkmcnt(0)
	v_mul_f64 v[44:45], v[55:56], v[14:15]
	v_mul_f64 v[48:49], v[55:56], v[12:13]
	v_mov_b32_e32 v69, v54
	v_mov_b32_e32 v68, v53
	v_mad_u64_u32 v[51:52], null, s1, v52, v[20:21]
	ds_read_b128 v[20:23], v100 offset:43008
	s_clause 0x3
	buffer_load_dword v24, off, s[36:39], 0 offset:248
	buffer_load_dword v25, off, s[36:39], 0 offset:252
	;; [unrolled: 1-line block ×4, first 2 shown]
	v_add_co_u32 v52, vcc_lo, v40, s5
	v_add_co_ci_u32_e32 v53, vcc_lo, s4, v41, vcc_lo
	ds_read_b128 v[28:31], v100 offset:30720
	v_fma_f64 v[58:59], v[68:69], v[12:13], v[44:45]
	v_mul_f64 v[44:45], v[64:65], s[2:3]
	s_waitcnt vmcnt(2)
	v_mov_b32_e32 v71, v25
	v_mov_b32_e32 v70, v24
	v_mul_f64 v[24:25], v[60:61], s[2:3]
	v_fma_f64 v[60:61], v[68:69], v[14:15], -v[48:49]
	ds_read_b128 v[12:15], v100 offset:39936
	ds_read_b128 v[38:41], v100 offset:7680
	global_store_dwordx4 v[52:53], v[0:3], off
	ds_read_b128 v[0:3], v100 offset:16896
	v_mul_f64 v[48:49], v[66:67], s[2:3]
	s_clause 0x7
	buffer_load_dword v66, off, s[36:39], 0 offset:56
	buffer_load_dword v67, off, s[36:39], 0 offset:60
	;; [unrolled: 1-line block ×8, first 2 shown]
	s_waitcnt vmcnt(8)
	v_mul_f64 v[54:55], v[26:27], v[34:35]
	v_mul_f64 v[56:57], v[26:27], v[32:33]
	;; [unrolled: 1-line block ×3, first 2 shown]
	v_add_co_u32 v52, vcc_lo, v52, s5
	v_add_co_ci_u32_e32 v53, vcc_lo, s4, v53, vcc_lo
	v_fma_f64 v[54:55], v[70:71], v[32:33], v[54:55]
	v_fma_f64 v[56:57], v[70:71], v[34:35], -v[56:57]
	v_lshlrev_b64 v[32:33], 4, v[50:51]
	buffer_load_dword v70, off, s[36:39], 0 offset:32 ; 4-byte Folded Reload
	global_store_dwordx4 v[52:53], v[24:27], off
	ds_read_b128 v[24:27], v100 offset:26112
	v_add_co_u32 v32, vcc_lo, v36, v32
	v_add_co_ci_u32_e32 v33, vcc_lo, v37, v33, vcc_lo
	v_add_co_u32 v52, vcc_lo, v52, s7
	v_add_co_ci_u32_e32 v53, vcc_lo, s6, v53, vcc_lo
	global_store_dwordx4 v[32:33], v[42:45], off
	ds_read_b128 v[32:35], v100 offset:35328
	ds_read_b128 v[42:45], v100 offset:44544
	global_store_dwordx4 v[52:53], v[46:49], off
	v_mul_f64 v[46:47], v[58:59], s[2:3]
	v_mul_f64 v[48:49], v[60:61], s[2:3]
	s_waitcnt vmcnt(7)
	v_mov_b32_e32 v72, v67
	s_waitcnt vmcnt(5) lgkmcnt(7)
	v_mul_f64 v[62:63], v[68:69], v[22:23]
	v_mul_f64 v[64:65], v[68:69], v[20:21]
	v_mov_b32_e32 v71, v66
	s_waitcnt vmcnt(1)
	v_mul_f64 v[50:51], v[75:76], v[6:7]
	v_mul_f64 v[66:67], v[75:76], v[4:5]
	v_fma_f64 v[20:21], v[71:72], v[20:21], v[62:63]
	v_fma_f64 v[22:23], v[71:72], v[22:23], -v[64:65]
	v_fma_f64 v[50:51], v[73:74], v[4:5], v[50:51]
	v_fma_f64 v[59:60], v[73:74], v[6:7], -v[66:67]
	s_clause 0x7
	buffer_load_dword v4, off, s[36:39], 0 offset:88
	buffer_load_dword v5, off, s[36:39], 0 offset:92
	;; [unrolled: 1-line block ×8, first 2 shown]
	s_waitcnt vmcnt(8)
	v_mad_u64_u32 v[68:69], null, s0, v70, 0
	buffer_load_dword v84, off, s[36:39], 0 offset:508 ; 4-byte Folded Reload
	v_mov_b32_e32 v58, v69
	v_mul_f64 v[20:21], v[20:21], s[2:3]
	v_mul_f64 v[22:23], v[22:23], s[2:3]
	;; [unrolled: 1-line block ×3, first 2 shown]
	v_mad_u64_u32 v[65:66], null, s1, v70, v[58:59]
	v_add_co_u32 v66, vcc_lo, v52, s5
	v_add_co_ci_u32_e32 v67, vcc_lo, s4, v53, vcc_lo
	v_mul_f64 v[52:53], v[59:60], s[2:3]
	v_mov_b32_e32 v69, v65
	v_lshlrev_b64 v[68:69], 4, v[68:69]
	s_waitcnt vmcnt(5) lgkmcnt(4)
	v_mul_f64 v[61:62], v[6:7], v[40:41]
	s_waitcnt vmcnt(3)
	v_mov_b32_e32 v77, v73
	v_mul_f64 v[63:64], v[6:7], v[38:39]
	v_mul_f64 v[6:7], v[56:57], s[2:3]
	s_waitcnt vmcnt(1)
	v_mul_f64 v[56:57], v[74:75], v[10:11]
	v_mul_f64 v[70:71], v[74:75], v[8:9]
	v_mov_b32_e32 v76, v72
	s_clause 0x3
	buffer_load_dword v72, off, s[36:39], 0 offset:72
	buffer_load_dword v73, off, s[36:39], 0 offset:76
	;; [unrolled: 1-line block ×4, first 2 shown]
	v_mov_b32_e32 v79, v5
	v_mov_b32_e32 v78, v4
	v_mul_f64 v[4:5], v[54:55], s[2:3]
	v_add_co_u32 v54, vcc_lo, v66, s5
	s_clause 0x3
	buffer_load_dword v80, off, s[36:39], 0 offset:104
	buffer_load_dword v81, off, s[36:39], 0 offset:108
	buffer_load_dword v82, off, s[36:39], 0 offset:112
	buffer_load_dword v83, off, s[36:39], 0 offset:116
	v_add_co_ci_u32_e32 v55, vcc_lo, s4, v67, vcc_lo
	global_store_dwordx4 v[66:67], v[46:49], off
	s_waitcnt vmcnt(8)
	v_mad_u64_u32 v[58:59], null, s0, v84, 0
	v_fma_f64 v[38:39], v[78:79], v[38:39], v[61:62]
	v_fma_f64 v[40:41], v[78:79], v[40:41], -v[63:64]
	v_add_co_u32 v64, vcc_lo, v36, v68
	v_fma_f64 v[8:9], v[76:77], v[8:9], v[56:57]
	v_fma_f64 v[10:11], v[76:77], v[10:11], -v[70:71]
	v_add_co_ci_u32_e32 v65, vcc_lo, v37, v69, vcc_lo
	global_store_dwordx4 v[54:55], v[4:7], off
	global_store_dwordx4 v[64:65], v[20:23], off
	v_mul_f64 v[4:5], v[8:9], s[2:3]
	v_mul_f64 v[6:7], v[10:11], s[2:3]
	s_waitcnt vmcnt(4) lgkmcnt(3)
	v_mul_f64 v[60:61], v[74:75], v[2:3]
	v_mul_f64 v[62:63], v[74:75], v[0:1]
	v_mad_u64_u32 v[74:75], null, 0xffff7600, s0, v[54:55]
	v_mov_b32_e32 v79, v73
	v_mov_b32_e32 v78, v72
	s_waitcnt vmcnt(0)
	v_mul_f64 v[72:73], v[82:83], v[16:17]
	v_mul_f64 v[68:69], v[82:83], v[18:19]
	v_add_nc_u32_e32 v75, s8, v75
	v_add_co_u32 v46, vcc_lo, v74, s5
	global_store_dwordx4 v[74:75], v[50:53], off
	s_clause 0x7
	buffer_load_dword v50, off, s[36:39], 0 offset:120
	buffer_load_dword v51, off, s[36:39], 0 offset:124
	;; [unrolled: 1-line block ×8, first 2 shown]
	v_add_co_ci_u32_e32 v47, vcc_lo, s4, v75, vcc_lo
	v_mad_u64_u32 v[56:57], null, s1, v84, v[59:60]
	v_fma_f64 v[20:21], v[78:79], v[0:1], v[60:61]
	v_fma_f64 v[22:23], v[78:79], v[2:3], -v[62:63]
	v_mul_f64 v[0:1], v[38:39], s[2:3]
	v_mul_f64 v[2:3], v[40:41], s[2:3]
	v_fma_f64 v[18:19], v[80:81], v[18:19], -v[72:73]
	v_fma_f64 v[16:17], v[80:81], v[16:17], v[68:69]
	v_mov_b32_e32 v59, v56
	s_clause 0x3
	buffer_load_dword v54, off, s[36:39], 0 offset:136
	buffer_load_dword v55, off, s[36:39], 0 offset:140
	;; [unrolled: 1-line block ×4, first 2 shown]
	v_lshlrev_b64 v[38:39], 4, v[58:59]
	s_clause 0x7
	buffer_load_dword v58, off, s[36:39], 0 offset:152
	buffer_load_dword v59, off, s[36:39], 0 offset:156
	;; [unrolled: 1-line block ×8, first 2 shown]
	v_add_co_u32 v38, vcc_lo, v36, v38
	v_add_co_ci_u32_e32 v39, vcc_lo, v37, v39, vcc_lo
	v_mul_f64 v[18:19], v[18:19], s[2:3]
	v_mul_f64 v[16:17], v[16:17], s[2:3]
	s_waitcnt vmcnt(16) lgkmcnt(2)
	v_mul_f64 v[40:41], v[52:53], v[26:27]
	v_mul_f64 v[48:49], v[52:53], v[24:25]
	s_waitcnt vmcnt(12)
	v_mul_f64 v[52:53], v[10:11], v[28:29]
	v_mov_b32_e32 v63, v9
	v_mov_b32_e32 v62, v8
	;; [unrolled: 1-line block ×4, first 2 shown]
	v_mul_f64 v[50:51], v[10:11], v[30:31]
	v_mul_f64 v[8:9], v[20:21], s[2:3]
	;; [unrolled: 1-line block ×3, first 2 shown]
	s_waitcnt vmcnt(8) lgkmcnt(1)
	v_mul_f64 v[20:21], v[56:57], v[34:35]
	v_mul_f64 v[22:23], v[56:57], v[32:33]
	v_mov_b32_e32 v67, v55
	v_mov_b32_e32 v66, v54
	s_waitcnt vmcnt(4)
	v_mul_f64 v[54:55], v[60:61], v[14:15]
	v_mul_f64 v[56:57], v[60:61], v[12:13]
	v_mov_b32_e32 v69, v59
	v_mov_b32_e32 v68, v58
	v_fma_f64 v[30:31], v[62:63], v[30:31], -v[52:53]
	buffer_load_dword v52, off, s[36:39], 0 offset:12 ; 4-byte Folded Reload
	s_waitcnt vmcnt(1) lgkmcnt(0)
	v_mul_f64 v[58:59], v[72:73], v[44:45]
	v_mul_f64 v[60:61], v[72:73], v[42:43]
	v_fma_f64 v[24:25], v[64:65], v[24:25], v[40:41]
	v_fma_f64 v[26:27], v[64:65], v[26:27], -v[48:49]
	v_fma_f64 v[28:29], v[62:63], v[28:29], v[50:51]
	v_add_co_u32 v40, vcc_lo, v46, s7
	v_add_co_ci_u32_e32 v41, vcc_lo, s6, v47, vcc_lo
	global_store_dwordx4 v[46:47], v[0:3], off
	global_store_dwordx4 v[38:39], v[4:7], off
	v_add_co_u32 v48, vcc_lo, v40, s5
	v_fma_f64 v[20:21], v[66:67], v[32:33], v[20:21]
	v_fma_f64 v[22:23], v[66:67], v[34:35], -v[22:23]
	v_add_co_ci_u32_e32 v49, vcc_lo, s4, v41, vcc_lo
	v_fma_f64 v[12:13], v[68:69], v[12:13], v[54:55]
	v_fma_f64 v[14:15], v[68:69], v[14:15], -v[56:57]
	global_store_dwordx4 v[40:41], v[8:11], off
	global_store_dwordx4 v[48:49], v[16:19], off
	v_mul_f64 v[6:7], v[30:31], s[2:3]
	v_fma_f64 v[32:33], v[70:71], v[42:43], v[58:59]
	v_fma_f64 v[34:35], v[70:71], v[44:45], -v[60:61]
	v_mul_f64 v[0:1], v[24:25], s[2:3]
	v_add_co_u32 v24, vcc_lo, v48, s5
	v_mul_f64 v[4:5], v[28:29], s[2:3]
	v_add_co_ci_u32_e32 v25, vcc_lo, s4, v49, vcc_lo
	v_mul_f64 v[10:11], v[22:23], s[2:3]
	v_mul_f64 v[12:13], v[12:13], s[2:3]
	;; [unrolled: 1-line block ×5, first 2 shown]
	s_waitcnt vmcnt(0)
	v_mad_u64_u32 v[50:51], null, s0, v52, 0
	v_mov_b32_e32 v2, v51
	v_mad_u64_u32 v[8:9], null, s1, v52, v[2:3]
	v_mul_f64 v[2:3], v[26:27], s[2:3]
	v_mov_b32_e32 v51, v8
	v_mul_f64 v[8:9], v[20:21], s[2:3]
	v_add_co_u32 v20, vcc_lo, v24, s7
	v_add_co_ci_u32_e32 v21, vcc_lo, s6, v25, vcc_lo
	v_lshlrev_b64 v[22:23], 4, v[50:51]
	v_add_co_u32 v26, vcc_lo, v20, s5
	v_add_co_ci_u32_e32 v27, vcc_lo, s4, v21, vcc_lo
	v_add_co_u32 v22, vcc_lo, v36, v22
	v_add_co_ci_u32_e32 v23, vcc_lo, v37, v23, vcc_lo
	v_add_co_u32 v28, vcc_lo, v26, s5
	v_add_co_ci_u32_e32 v29, vcc_lo, s4, v27, vcc_lo
	global_store_dwordx4 v[24:25], v[0:3], off
	global_store_dwordx4 v[22:23], v[4:7], off
	;; [unrolled: 1-line block ×5, first 2 shown]
.LBB0_2:
	s_endpgm
	.section	.rodata,"a",@progbits
	.p2align	6, 0x0
	.amdhsa_kernel bluestein_single_back_len2880_dim1_dp_op_CI_CI
		.amdhsa_group_segment_fixed_size 46080
		.amdhsa_private_segment_fixed_size 1688
		.amdhsa_kernarg_size 104
		.amdhsa_user_sgpr_count 6
		.amdhsa_user_sgpr_private_segment_buffer 1
		.amdhsa_user_sgpr_dispatch_ptr 0
		.amdhsa_user_sgpr_queue_ptr 0
		.amdhsa_user_sgpr_kernarg_segment_ptr 1
		.amdhsa_user_sgpr_dispatch_id 0
		.amdhsa_user_sgpr_flat_scratch_init 0
		.amdhsa_user_sgpr_private_segment_size 0
		.amdhsa_wavefront_size32 1
		.amdhsa_uses_dynamic_stack 0
		.amdhsa_system_sgpr_private_segment_wavefront_offset 1
		.amdhsa_system_sgpr_workgroup_id_x 1
		.amdhsa_system_sgpr_workgroup_id_y 0
		.amdhsa_system_sgpr_workgroup_id_z 0
		.amdhsa_system_sgpr_workgroup_info 0
		.amdhsa_system_vgpr_workitem_id 0
		.amdhsa_next_free_vgpr 256
		.amdhsa_next_free_sgpr 40
		.amdhsa_reserve_vcc 1
		.amdhsa_reserve_flat_scratch 0
		.amdhsa_float_round_mode_32 0
		.amdhsa_float_round_mode_16_64 0
		.amdhsa_float_denorm_mode_32 3
		.amdhsa_float_denorm_mode_16_64 3
		.amdhsa_dx10_clamp 1
		.amdhsa_ieee_mode 1
		.amdhsa_fp16_overflow 0
		.amdhsa_workgroup_processor_mode 1
		.amdhsa_memory_ordered 1
		.amdhsa_forward_progress 0
		.amdhsa_shared_vgpr_count 0
		.amdhsa_exception_fp_ieee_invalid_op 0
		.amdhsa_exception_fp_denorm_src 0
		.amdhsa_exception_fp_ieee_div_zero 0
		.amdhsa_exception_fp_ieee_overflow 0
		.amdhsa_exception_fp_ieee_underflow 0
		.amdhsa_exception_fp_ieee_inexact 0
		.amdhsa_exception_int_div_zero 0
	.end_amdhsa_kernel
	.text
.Lfunc_end0:
	.size	bluestein_single_back_len2880_dim1_dp_op_CI_CI, .Lfunc_end0-bluestein_single_back_len2880_dim1_dp_op_CI_CI
                                        ; -- End function
	.section	.AMDGPU.csdata,"",@progbits
; Kernel info:
; codeLenInByte = 49856
; NumSgprs: 42
; NumVgprs: 256
; ScratchSize: 1688
; MemoryBound: 0
; FloatMode: 240
; IeeeMode: 1
; LDSByteSize: 46080 bytes/workgroup (compile time only)
; SGPRBlocks: 5
; VGPRBlocks: 31
; NumSGPRsForWavesPerEU: 42
; NumVGPRsForWavesPerEU: 256
; Occupancy: 2
; WaveLimiterHint : 1
; COMPUTE_PGM_RSRC2:SCRATCH_EN: 1
; COMPUTE_PGM_RSRC2:USER_SGPR: 6
; COMPUTE_PGM_RSRC2:TRAP_HANDLER: 0
; COMPUTE_PGM_RSRC2:TGID_X_EN: 1
; COMPUTE_PGM_RSRC2:TGID_Y_EN: 0
; COMPUTE_PGM_RSRC2:TGID_Z_EN: 0
; COMPUTE_PGM_RSRC2:TIDIG_COMP_CNT: 0
	.text
	.p2alignl 6, 3214868480
	.fill 48, 4, 3214868480
	.type	__hip_cuid_934edd57c1ebf892,@object ; @__hip_cuid_934edd57c1ebf892
	.section	.bss,"aw",@nobits
	.globl	__hip_cuid_934edd57c1ebf892
__hip_cuid_934edd57c1ebf892:
	.byte	0                               ; 0x0
	.size	__hip_cuid_934edd57c1ebf892, 1

	.ident	"AMD clang version 19.0.0git (https://github.com/RadeonOpenCompute/llvm-project roc-6.4.0 25133 c7fe45cf4b819c5991fe208aaa96edf142730f1d)"
	.section	".note.GNU-stack","",@progbits
	.addrsig
	.addrsig_sym __hip_cuid_934edd57c1ebf892
	.amdgpu_metadata
---
amdhsa.kernels:
  - .args:
      - .actual_access:  read_only
        .address_space:  global
        .offset:         0
        .size:           8
        .value_kind:     global_buffer
      - .actual_access:  read_only
        .address_space:  global
        .offset:         8
        .size:           8
        .value_kind:     global_buffer
      - .actual_access:  read_only
        .address_space:  global
        .offset:         16
        .size:           8
        .value_kind:     global_buffer
      - .actual_access:  read_only
        .address_space:  global
        .offset:         24
        .size:           8
        .value_kind:     global_buffer
      - .actual_access:  read_only
        .address_space:  global
        .offset:         32
        .size:           8
        .value_kind:     global_buffer
      - .offset:         40
        .size:           8
        .value_kind:     by_value
      - .address_space:  global
        .offset:         48
        .size:           8
        .value_kind:     global_buffer
      - .address_space:  global
        .offset:         56
        .size:           8
        .value_kind:     global_buffer
      - .address_space:  global
        .offset:         64
        .size:           8
        .value_kind:     global_buffer
      - .address_space:  global
        .offset:         72
        .size:           8
        .value_kind:     global_buffer
      - .offset:         80
        .size:           4
        .value_kind:     by_value
      - .address_space:  global
        .offset:         88
        .size:           8
        .value_kind:     global_buffer
      - .address_space:  global
        .offset:         96
        .size:           8
        .value_kind:     global_buffer
    .group_segment_fixed_size: 46080
    .kernarg_segment_align: 8
    .kernarg_segment_size: 104
    .language:       OpenCL C
    .language_version:
      - 2
      - 0
    .max_flat_workgroup_size: 96
    .name:           bluestein_single_back_len2880_dim1_dp_op_CI_CI
    .private_segment_fixed_size: 1688
    .sgpr_count:     42
    .sgpr_spill_count: 0
    .symbol:         bluestein_single_back_len2880_dim1_dp_op_CI_CI.kd
    .uniform_work_group_size: 1
    .uses_dynamic_stack: false
    .vgpr_count:     256
    .vgpr_spill_count: 421
    .wavefront_size: 32
    .workgroup_processor_mode: 1
amdhsa.target:   amdgcn-amd-amdhsa--gfx1030
amdhsa.version:
  - 1
  - 2
...

	.end_amdgpu_metadata
